;; amdgpu-corpus repo=ROCm/rocFFT kind=compiled arch=gfx1201 opt=O3
	.text
	.amdgcn_target "amdgcn-amd-amdhsa--gfx1201"
	.amdhsa_code_object_version 6
	.protected	bluestein_single_back_len714_dim1_sp_op_CI_CI ; -- Begin function bluestein_single_back_len714_dim1_sp_op_CI_CI
	.globl	bluestein_single_back_len714_dim1_sp_op_CI_CI
	.p2align	8
	.type	bluestein_single_back_len714_dim1_sp_op_CI_CI,@function
bluestein_single_back_len714_dim1_sp_op_CI_CI: ; @bluestein_single_back_len714_dim1_sp_op_CI_CI
; %bb.0:
	s_load_b128 s[8:11], s[0:1], 0x28
	v_mul_u32_u24_e32 v1, 0x506, v0
	s_mov_b32 s2, exec_lo
	v_mov_b32_e32 v89, 0
	s_delay_alu instid0(VALU_DEP_2) | instskip(NEXT) | instid1(VALU_DEP_1)
	v_lshrrev_b32_e32 v1, 16, v1
	v_add_nc_u32_e32 v88, ttmp9, v1
	s_wait_kmcnt 0x0
	s_delay_alu instid0(VALU_DEP_1)
	v_cmpx_gt_u64_e64 s[8:9], v[88:89]
	s_cbranch_execz .LBB0_23
; %bb.1:
	s_clause 0x1
	s_load_b128 s[4:7], s[0:1], 0x18
	s_load_b64 s[16:17], s[0:1], 0x0
	v_mul_lo_u16 v1, v1, 51
	s_movk_i32 s2, 0xfe57
	s_mov_b32 s3, -1
	s_delay_alu instid0(VALU_DEP_1) | instskip(NEXT) | instid1(VALU_DEP_1)
	v_sub_nc_u16 v34, v0, v1
	v_and_b32_e32 v128, 0xffff, v34
	s_wait_kmcnt 0x0
	s_load_b128 s[12:15], s[4:5], 0x0
	s_wait_kmcnt 0x0
	v_mad_co_u64_u32 v[0:1], null, s14, v88, 0
	v_mad_co_u64_u32 v[2:3], null, s12, v128, 0
	s_mul_u64 s[4:5], s[12:13], 0xee
	s_mul_u64 s[2:3], s[12:13], s[2:3]
	s_delay_alu instid0(SALU_CYCLE_1) | instskip(NEXT) | instid1(VALU_DEP_1)
	s_lshl_b64 s[2:3], s[2:3], 3
	v_mad_co_u64_u32 v[4:5], null, s15, v88, v[1:2]
	s_delay_alu instid0(VALU_DEP_1) | instskip(NEXT) | instid1(VALU_DEP_3)
	v_mov_b32_e32 v1, v4
	v_mad_co_u64_u32 v[5:6], null, s13, v128, v[3:4]
	v_lshlrev_b32_e32 v127, 3, v128
	s_clause 0x2
	global_load_b64 v[101:102], v127, s[16:17] offset:1904
	global_load_b64 v[82:83], v127, s[16:17] offset:2312
	;; [unrolled: 1-line block ×3, first 2 shown]
	v_mov_b32_e32 v3, v5
	v_lshlrev_b64_e32 v[0:1], 3, v[0:1]
	s_clause 0x6
	global_load_b64 v[97:98], v127, s[16:17] offset:3808
	global_load_b64 v[89:90], v127, s[16:17] offset:4216
	;; [unrolled: 1-line block ×3, first 2 shown]
	global_load_b64 v[103:104], v127, s[16:17]
	global_load_b64 v[99:100], v127, s[16:17] offset:408
	global_load_b64 v[95:96], v127, s[16:17] offset:816
	;; [unrolled: 1-line block ×3, first 2 shown]
	v_lshlrev_b64_e32 v[2:3], 3, v[2:3]
	v_add_co_u32 v0, vcc_lo, s10, v0
	v_add_co_ci_u32_e32 v1, vcc_lo, s11, v1, vcc_lo
	s_lshl_b64 s[10:11], s[4:5], 3
	s_delay_alu instid0(VALU_DEP_2) | instskip(SKIP_1) | instid1(VALU_DEP_2)
	v_add_co_u32 v0, vcc_lo, v0, v2
	s_wait_alu 0xfffd
	v_add_co_ci_u32_e32 v1, vcc_lo, v1, v3, vcc_lo
	s_wait_alu 0xfffe
	s_delay_alu instid0(VALU_DEP_2) | instskip(SKIP_1) | instid1(VALU_DEP_2)
	v_add_co_u32 v2, vcc_lo, v0, s10
	s_wait_alu 0xfffd
	v_add_co_ci_u32_e32 v3, vcc_lo, s11, v1, vcc_lo
	global_load_b64 v[6:7], v[0:1], off
	v_add_co_u32 v4, vcc_lo, v2, s10
	global_load_b64 v[8:9], v[2:3], off
	s_wait_alu 0xfffd
	v_add_co_ci_u32_e32 v5, vcc_lo, s11, v3, vcc_lo
	v_add_co_u32 v0, vcc_lo, v4, s2
	s_wait_alu 0xfffd
	s_delay_alu instid0(VALU_DEP_2) | instskip(NEXT) | instid1(VALU_DEP_2)
	v_add_co_ci_u32_e32 v1, vcc_lo, s3, v5, vcc_lo
	v_add_co_u32 v2, vcc_lo, v0, s10
	s_clause 0x1
	global_load_b64 v[10:11], v[4:5], off
	global_load_b64 v[12:13], v[0:1], off
	s_wait_alu 0xfffd
	v_add_co_ci_u32_e32 v3, vcc_lo, s11, v1, vcc_lo
	v_add_co_u32 v0, vcc_lo, v2, s10
	s_wait_alu 0xfffd
	s_delay_alu instid0(VALU_DEP_2)
	v_add_co_ci_u32_e32 v1, vcc_lo, s11, v3, vcc_lo
	global_load_b64 v[14:15], v[2:3], off
	v_add_co_u32 v2, vcc_lo, v0, s2
	s_wait_alu 0xfffd
	v_add_co_ci_u32_e32 v3, vcc_lo, s3, v1, vcc_lo
	global_load_b64 v[16:17], v[0:1], off
	v_add_co_u32 v0, vcc_lo, v2, s10
	s_wait_alu 0xfffd
	;; [unrolled: 4-line block ×6, first 2 shown]
	v_add_co_ci_u32_e32 v1, vcc_lo, s11, v3, vcc_lo
	v_cmp_gt_u16_e32 vcc_lo, 34, v34
	s_wait_loadcnt 0x8
	v_mul_f32_e32 v30, v9, v102
	global_load_b64 v[91:92], v127, s[16:17] offset:3128
	global_load_b64 v[26:27], v[2:3], off
	global_load_b64 v[93:94], v127, s[16:17] offset:5032
	global_load_b64 v[28:29], v[0:1], off
	v_dual_mul_f32 v5, v7, v104 :: v_dual_add_nc_u32 v4, 0x1000, v127
	v_dual_mul_f32 v3, v6, v104 :: v_dual_fmac_f32 v30, v8, v101
	s_load_b64 s[8:9], s[0:1], 0x38
	s_load_b128 s[4:7], s[6:7], 0x0
	s_delay_alu instid0(VALU_DEP_2)
	v_fmac_f32_e32 v5, v6, v103
	v_add_nc_u32_e32 v2, 0x800, v127
	v_fma_f32 v6, v7, v103, -v3
	s_wait_loadcnt 0xa
	v_dual_mul_f32 v32, v13, v100 :: v_dual_mul_f32 v3, v8, v102
	v_dual_mul_f32 v8, v10, v98 :: v_dual_mul_f32 v33, v12, v100
	s_delay_alu instid0(VALU_DEP_2) | instskip(NEXT) | instid1(VALU_DEP_3)
	v_dual_mul_f32 v7, v11, v98 :: v_dual_fmac_f32 v32, v12, v99
	v_fma_f32 v31, v9, v101, -v3
	s_delay_alu instid0(VALU_DEP_3)
	v_fma_f32 v8, v11, v97, -v8
	s_wait_loadcnt 0x9
	v_mul_f32_e32 v3, v14, v83
	v_fma_f32 v33, v13, v99, -v33
	v_fmac_f32_e32 v7, v10, v97
	v_mul_f32_e32 v9, v15, v83
	ds_store_b64 v127, v[30:31] offset:1904
	ds_store_b64 v127, v[7:8] offset:3808
	v_fma_f32 v10, v15, v82, -v3
	s_wait_loadcnt 0x8
	v_mul_f32_e32 v3, v16, v90
	ds_store_2addr_b64 v127, v[5:6], v[32:33] offset1:51
	v_mul_f32_e32 v7, v17, v90
	s_wait_loadcnt 0x7
	v_mul_f32_e32 v5, v19, v96
	v_add_co_u32 v78, s12, s16, v127
	v_fma_f32 v8, v17, v89, -v3
	s_wait_loadcnt 0x6
	v_mul_f32_e32 v11, v21, v85
	v_dual_mul_f32 v6, v20, v85 :: v_dual_mul_f32 v3, v18, v96
	v_fmac_f32_e32 v9, v14, v82
	s_wait_alu 0xf1ff
	v_add_co_ci_u32_e64 v79, null, s17, 0, s12
	v_fmac_f32_e32 v11, v20, v84
	v_fma_f32 v12, v21, v84, -v6
	s_wait_loadcnt 0x5
	v_mul_f32_e32 v13, v23, v87
	v_mul_f32_e32 v14, v22, v87
	v_fma_f32 v6, v19, v95, -v3
	s_wait_loadcnt 0x4
	v_mul_f32_e32 v15, v25, v81
	v_mul_f32_e32 v3, v24, v81
	ds_store_2addr_b64 v2, v[9:10], v[11:12] offset0:33 offset1:84
	v_fmac_f32_e32 v13, v22, v86
	v_fma_f32 v14, v23, v86, -v14
	v_fmac_f32_e32 v5, v18, v95
	v_fmac_f32_e32 v15, v24, v80
	s_wait_loadcnt 0x2
	v_mul_f32_e32 v10, v26, v92
	v_mul_f32_e32 v9, v27, v92
	s_wait_loadcnt 0x0
	v_mul_f32_e32 v11, v29, v94
	v_mul_f32_e32 v12, v28, v94
	v_fmac_f32_e32 v7, v16, v89
	v_fma_f32 v16, v25, v80, -v3
	v_fmac_f32_e32 v9, v26, v91
	v_fma_f32 v10, v27, v91, -v10
	;; [unrolled: 2-line block ×3, first 2 shown]
	ds_store_2addr_b64 v4, v[7:8], v[13:14] offset0:15 offset1:66
	ds_store_2addr_b64 v127, v[5:6], v[15:16] offset0:102 offset1:153
	ds_store_b64 v127, v[9:10] offset:3128
	ds_store_b64 v127, v[11:12] offset:5032
	s_and_saveexec_b32 s12, vcc_lo
	s_cbranch_execz .LBB0_3
; %bb.2:
	v_add_co_u32 v0, s2, v0, s2
	s_wait_alu 0xf1ff
	v_add_co_ci_u32_e64 v1, s2, s3, v1, s2
	global_load_b64 v[7:8], v[78:79], off offset:1632
	global_load_b64 v[5:6], v[0:1], off
	v_add_co_u32 v0, s2, v0, s10
	s_wait_alu 0xf1ff
	v_add_co_ci_u32_e64 v1, s2, s11, v1, s2
	v_add_nc_u32_e32 v3, 0x600, v127
	s_delay_alu instid0(VALU_DEP_3) | instskip(SKIP_1) | instid1(VALU_DEP_3)
	v_add_co_u32 v9, s2, v0, s10
	s_wait_alu 0xf1ff
	v_add_co_ci_u32_e64 v10, s2, s11, v1, s2
	global_load_b64 v[0:1], v[0:1], off
	s_clause 0x1
	global_load_b64 v[11:12], v[78:79], off offset:3536
	global_load_b64 v[13:14], v[78:79], off offset:5440
	global_load_b64 v[9:10], v[9:10], off
	s_wait_loadcnt 0x4
	v_mul_f32_e32 v16, v5, v8
	v_mul_f32_e32 v15, v6, v8
	s_delay_alu instid0(VALU_DEP_2)
	v_fma_f32 v16, v6, v7, -v16
	s_wait_loadcnt 0x0
	v_mul_f32_e32 v8, v10, v14
	v_mul_f32_e32 v14, v9, v14
	v_fmac_f32_e32 v15, v5, v7
	v_mul_f32_e32 v5, v1, v12
	v_mul_f32_e32 v12, v0, v12
	s_delay_alu instid0(VALU_DEP_2) | instskip(NEXT) | instid1(VALU_DEP_2)
	v_fmac_f32_e32 v5, v0, v11
	v_fma_f32 v6, v1, v11, -v12
	v_fmac_f32_e32 v8, v9, v13
	v_fma_f32 v9, v10, v13, -v14
	ds_store_2addr_b64 v3, v[15:16], v[5:6] offset0:12 offset1:250
	ds_store_b64 v127, v[8:9] offset:5440
.LBB0_3:
	s_wait_alu 0xfffe
	s_or_b32 exec_lo, exec_lo, s12
	v_add_nc_u32_e32 v0, 0x400, v127
	v_add_nc_u32_e32 v1, 0xc00, v127
	global_wb scope:SCOPE_SE
	s_wait_dscnt 0x0
	s_wait_kmcnt 0x0
	s_barrier_signal -1
	s_barrier_wait -1
	global_inv scope:SCOPE_SE
	ds_load_2addr_b64 v[36:39], v127 offset1:51
	ds_load_2addr_b64 v[12:15], v0 offset0:110 offset1:161
	ds_load_2addr_b64 v[8:11], v1 offset0:92 offset1:143
	;; [unrolled: 1-line block ×5, first 2 shown]
                                        ; implicit-def: $vgpr46
                                        ; implicit-def: $vgpr16
	s_and_saveexec_b32 s2, vcc_lo
	s_cbranch_execz .LBB0_5
; %bb.4:
	v_add_nc_u32_e32 v16, 0x600, v127
	ds_load_2addr_b64 v[44:47], v16 offset0:12 offset1:250
	ds_load_b64 v[16:17], v127 offset:5440
.LBB0_5:
	s_wait_alu 0xfffe
	s_or_b32 exec_lo, exec_lo, s2
	s_wait_dscnt 0x3
	v_dual_add_f32 v24, v13, v9 :: v_dual_add_nc_u32 v19, 0x66, v128
	v_add_f32_e32 v21, v12, v8
	v_add_f32_e32 v22, v36, v12
	v_add_nc_u32_e32 v18, 51, v128
	v_add_nc_u32_e32 v20, 0x99, v128
	v_fma_f32 v49, -0.5, v24, v37
	s_load_b64 s[2:3], s[0:1], 0x8
	v_add_f32_e32 v32, v22, v8
	v_sub_f32_e32 v8, v12, v8
	v_add_f32_e32 v12, v38, v14
	v_fma_f32 v48, -0.5, v21, v36
	v_sub_f32_e32 v21, v13, v9
	v_add_f32_e32 v13, v37, v13
	v_add_co_u32 v23, null, 0xcc, v128
	global_wb scope:SCOPE_SE
	s_wait_dscnt 0x0
	s_wait_kmcnt 0x0
	s_barrier_signal -1
	v_add_f32_e32 v33, v13, v9
	v_dual_add_f32 v9, v14, v10 :: v_dual_fmamk_f32 v34, v21, 0x3f5db3d7, v48
	v_dual_fmac_f32 v48, 0xbf5db3d7, v21 :: v_dual_fmamk_f32 v35, v8, 0xbf5db3d7, v49
	v_dual_fmac_f32 v49, 0x3f5db3d7, v8 :: v_dual_add_f32 v8, v15, v11
	s_delay_alu instid0(VALU_DEP_3)
	v_fma_f32 v38, -0.5, v9, v38
	v_sub_f32_e32 v9, v15, v11
	v_mul_u32_u24_e32 v133, 3, v23
	s_barrier_wait -1
	global_inv scope:SCOPE_SE
	v_fmamk_f32 v64, v9, 0x3f5db3d7, v38
	v_dual_fmac_f32 v38, 0xbf5db3d7, v9 :: v_dual_add_f32 v9, v0, v4
	v_add_f32_e32 v36, v12, v10
	v_dual_add_f32 v12, v39, v15 :: v_dual_fmac_f32 v39, -0.5, v8
	v_sub_f32_e32 v8, v14, v10
	v_add_f32_e32 v10, v40, v0
	v_fma_f32 v52, -0.5, v9, v40
	v_dual_sub_f32 v9, v1, v5 :: v_dual_sub_f32 v0, v0, v4
	s_delay_alu instid0(VALU_DEP_4) | instskip(SKIP_4) | instid1(VALU_DEP_3)
	v_fmamk_f32 v65, v8, 0xbf5db3d7, v39
	v_add_f32_e32 v37, v12, v11
	v_dual_fmac_f32 v39, 0x3f5db3d7, v8 :: v_dual_add_f32 v8, v1, v5
	v_dual_add_f32 v56, v10, v4 :: v_dual_add_f32 v1, v41, v1
	v_add_f32_e32 v4, v42, v2
	v_fma_f32 v53, -0.5, v8, v41
	s_delay_alu instid0(VALU_DEP_3) | instskip(SKIP_1) | instid1(VALU_DEP_3)
	v_add_f32_e32 v57, v1, v5
	v_dual_add_f32 v1, v2, v6 :: v_dual_fmamk_f32 v58, v9, 0x3f5db3d7, v52
	v_dual_fmac_f32 v52, 0xbf5db3d7, v9 :: v_dual_fmamk_f32 v59, v0, 0xbf5db3d7, v53
	v_dual_fmac_f32 v53, 0x3f5db3d7, v0 :: v_dual_add_f32 v0, v3, v7
	s_delay_alu instid0(VALU_DEP_3) | instskip(SKIP_1) | instid1(VALU_DEP_1)
	v_fma_f32 v42, -0.5, v1, v42
	v_sub_f32_e32 v1, v3, v7
	v_dual_add_f32 v3, v43, v3 :: v_dual_fmamk_f32 v66, v1, 0x3f5db3d7, v42
	v_dual_fmac_f32 v42, 0xbf5db3d7, v1 :: v_dual_add_f32 v1, v46, v16
	v_dual_add_f32 v40, v4, v6 :: v_dual_fmac_f32 v43, -0.5, v0
	s_delay_alu instid0(VALU_DEP_3) | instskip(SKIP_1) | instid1(VALU_DEP_4)
	v_dual_sub_f32 v0, v2, v6 :: v_dual_add_f32 v41, v3, v7
	v_add_f32_e32 v2, v46, v44
	v_fmac_f32_e32 v44, -0.5, v1
	v_sub_f32_e32 v1, v47, v17
	s_delay_alu instid0(VALU_DEP_4) | instskip(NEXT) | instid1(VALU_DEP_4)
	v_fmamk_f32 v67, v0, 0xbf5db3d7, v43
	v_dual_fmac_f32 v43, 0x3f5db3d7, v0 :: v_dual_add_f32 v60, v16, v2
	v_add_f32_e32 v2, v47, v45
	v_add_f32_e32 v0, v47, v17
	v_mul_lo_u16 v3, v128, 3
	s_delay_alu instid0(VALU_DEP_3) | instskip(NEXT) | instid1(VALU_DEP_3)
	v_add_f32_e32 v61, v17, v2
	v_dual_fmac_f32 v45, -0.5, v0 :: v_dual_fmamk_f32 v62, v1, 0x3f5db3d7, v44
	v_fmac_f32_e32 v44, 0xbf5db3d7, v1
	v_mul_u32_u24_e32 v1, 3, v18
	v_sub_f32_e32 v0, v46, v16
	v_mul_u32_u24_e32 v2, 3, v20
	s_delay_alu instid0(VALU_DEP_3) | instskip(NEXT) | instid1(VALU_DEP_3)
	v_lshlrev_b32_e32 v135, 3, v1
	v_fmamk_f32 v63, v0, 0xbf5db3d7, v45
	v_fmac_f32_e32 v45, 0x3f5db3d7, v0
	v_and_b32_e32 v0, 0xffff, v3
	v_lshlrev_b32_e32 v132, 3, v2
	s_delay_alu instid0(VALU_DEP_2)
	v_lshlrev_b32_e32 v131, 3, v0
	v_mul_u32_u24_e32 v0, 3, v19
	ds_store_2addr_b64 v131, v[32:33], v[34:35] offset1:1
	ds_store_b64 v131, v[48:49] offset:16
	v_lshlrev_b32_e32 v134, 3, v0
	ds_store_2addr_b64 v135, v[36:37], v[64:65] offset1:1
	ds_store_b64 v135, v[38:39] offset:16
	ds_store_2addr_b64 v134, v[56:57], v[58:59] offset1:1
	ds_store_b64 v134, v[52:53] offset:16
	;; [unrolled: 2-line block ×3, first 2 shown]
	s_and_saveexec_b32 s0, vcc_lo
	s_cbranch_execz .LBB0_7
; %bb.6:
	v_lshlrev_b32_e32 v0, 3, v133
	ds_store_2addr_b64 v0, v[60:61], v[62:63] offset1:1
	ds_store_b64 v0, v[44:45] offset:16
.LBB0_7:
	s_wait_alu 0xfffe
	s_or_b32 exec_lo, exec_lo, s0
	v_cmp_gt_u16_e64 s0, 42, v128
	global_wb scope:SCOPE_SE
	s_wait_dscnt 0x0
	s_barrier_signal -1
	s_barrier_wait -1
	global_inv scope:SCOPE_SE
                                        ; implicit-def: $vgpr68
	s_and_saveexec_b32 s1, s0
	s_cbranch_execz .LBB0_9
; %bb.8:
	v_add_nc_u32_e32 v0, 0x800, v127
	ds_load_2addr_b64 v[36:39], v127 offset0:168 offset1:210
	ds_load_2addr_b64 v[48:51], v127 offset0:84 offset1:126
	;; [unrolled: 1-line block ×3, first 2 shown]
	s_wait_dscnt 0x2
	v_dual_mov_b32 v64, v36 :: v_dual_add_nc_u32 v1, 0x400, v127
	v_mov_b32_e32 v65, v37
	ds_load_2addr_b64 v[52:55], v0 offset0:80 offset1:122
	s_wait_dscnt 0x1
	v_dual_mov_b32 v67, v41 :: v_dual_add_nc_u32 v0, 0xc00, v127
	v_add_nc_u32_e32 v2, 0x1000, v127
	v_dual_mov_b32 v36, v50 :: v_dual_mov_b32 v37, v51
	s_wait_dscnt 0x0
	v_dual_mov_b32 v66, v40 :: v_dual_mov_b32 v41, v55
	ds_load_2addr_b64 v[32:35], v127 offset1:42
	ds_load_b64 v[68:69], v127 offset:5376
	ds_load_2addr_b64 v[56:59], v1 offset0:124 offset1:166
	ds_load_2addr_b64 v[60:63], v0 offset0:120 offset1:162
	;; [unrolled: 1-line block ×3, first 2 shown]
	v_mov_b32_e32 v40, v54
.LBB0_9:
	s_wait_alu 0xfffe
	s_or_b32 exec_lo, exec_lo, s1
	v_and_b32_e32 v0, 0xff, v128
	s_delay_alu instid0(VALU_DEP_1) | instskip(NEXT) | instid1(VALU_DEP_1)
	v_mul_lo_u16 v0, 0xab, v0
	v_lshrrev_b16 v130, 9, v0
	s_delay_alu instid0(VALU_DEP_1) | instskip(NEXT) | instid1(VALU_DEP_1)
	v_mul_lo_u16 v0, v130, 3
	v_sub_nc_u16 v0, v128, v0
	s_delay_alu instid0(VALU_DEP_1) | instskip(NEXT) | instid1(VALU_DEP_1)
	v_and_b32_e32 v129, 0xff, v0
	v_lshlrev_b32_e32 v28, 7, v129
	s_clause 0x7
	global_load_b128 v[20:23], v28, s[2:3]
	global_load_b128 v[12:15], v28, s[2:3] offset:16
	global_load_b128 v[8:11], v28, s[2:3] offset:32
	;; [unrolled: 1-line block ×7, first 2 shown]
	global_wb scope:SCOPE_SE
	s_wait_loadcnt_dscnt 0x0
	s_barrier_signal -1
	s_barrier_wait -1
	global_inv scope:SCOPE_SE
	v_mul_f32_e32 v118, v34, v21
	v_dual_mul_f32 v72, v48, v23 :: v_dual_mul_f32 v105, v39, v9
	v_dual_mul_f32 v111, v52, v3 :: v_dual_mul_f32 v50, v35, v21
	v_mul_f32_e32 v51, v49, v23
	v_dual_mul_f32 v115, v62, v25 :: v_dual_mul_f32 v70, v68, v31
	v_dual_mul_f32 v71, v46, v29 :: v_dual_fmac_f32 v118, v35, v20
	v_dual_mul_f32 v54, v37, v13 :: v_dual_mul_f32 v117, v60, v19
	v_dual_mul_f32 v73, v36, v13 :: v_dual_mul_f32 v106, v57, v11
	v_mul_f32_e32 v55, v65, v15
	v_dual_mul_f32 v74, v64, v15 :: v_dual_mul_f32 v75, v38, v9
	v_dual_mul_f32 v76, v56, v11 :: v_dual_mul_f32 v107, v59, v1
	;; [unrolled: 1-line block ×5, first 2 shown]
	v_dual_mul_f32 v114, v66, v7 :: v_dual_fmac_f32 v73, v37, v12
	v_dual_mul_f32 v138, v43, v17 :: v_dual_mul_f32 v141, v45, v27
	v_dual_mul_f32 v116, v42, v17 :: v_dual_mul_f32 v113, v44, v27
	;; [unrolled: 1-line block ×3, first 2 shown]
	v_dual_mul_f32 v142, v47, v29 :: v_dual_fmac_f32 v111, v53, v2
	v_dual_fmac_f32 v72, v49, v22 :: v_dual_fmac_f32 v75, v39, v8
	v_dual_fmac_f32 v70, v69, v30 :: v_dual_fmac_f32 v71, v47, v28
	v_fma_f32 v137, v34, v20, -v50
	v_fma_f32 v119, v48, v22, -v51
	v_fma_f32 v120, v36, v12, -v54
	v_fma_f32 v121, v64, v14, -v55
	v_dual_fmac_f32 v74, v65, v14 :: v_dual_fmac_f32 v77, v59, v0
	v_dual_fmac_f32 v76, v57, v10 :: v_dual_fmac_f32 v115, v63, v24
	v_fma_f32 v125, v52, v2, -v108
	v_fma_f32 v126, v40, v4, -v109
	v_dual_fmac_f32 v112, v41, v4 :: v_dual_add_f32 v35, v72, v71
	v_dual_fmac_f32 v114, v67, v6 :: v_dual_sub_f32 v47, v72, v71
	v_dual_fmac_f32 v116, v43, v16 :: v_dual_fmac_f32 v117, v61, v18
	v_fma_f32 v65, v62, v24, -v140
	v_fma_f32 v64, v44, v26, -v141
	;; [unrolled: 1-line block ×4, first 2 shown]
	s_delay_alu instid0(VALU_DEP_4)
	v_dual_sub_f32 v144, v118, v70 :: v_dual_sub_f32 v49, v121, v65
	v_fma_f32 v122, v38, v8, -v105
	v_fma_f32 v123, v56, v10, -v106
	;; [unrolled: 1-line block ×6, first 2 shown]
	v_dual_fmac_f32 v113, v45, v26 :: v_dual_add_f32 v34, v119, v63
	v_dual_add_f32 v68, v137, v62 :: v_dual_sub_f32 v45, v119, v63
	v_dual_sub_f32 v161, v137, v62 :: v_dual_add_f32 v36, v120, v64
	v_dual_sub_f32 v56, v75, v117 :: v_dual_sub_f32 v57, v76, v116
	v_dual_sub_f32 v58, v77, v114 :: v_dual_sub_f32 v61, v111, v112
	v_dual_sub_f32 v60, v125, v126 :: v_dual_mul_f32 v179, 0xbf2c7751, v47
	s_delay_alu instid0(VALU_DEP_3)
	v_dual_mul_f32 v182, 0xbeb8f4ab, v144 :: v_dual_mul_f32 v157, 0xbeb8f4ab, v57
	v_dual_mul_f32 v184, 0xbf2c7751, v144 :: v_dual_mul_f32 v185, 0xbf2c7751, v161
	v_dual_add_f32 v148, v118, v70 :: v_dual_add_f32 v37, v73, v113
	v_dual_sub_f32 v50, v73, v113 :: v_dual_sub_f32 v53, v122, v66
	v_dual_add_f32 v40, v122, v66 :: v_dual_sub_f32 v55, v123, v67
	v_dual_add_f32 v44, v124, v136 :: v_dual_add_f32 v51, v125, v126
	v_dual_add_f32 v48, v77, v114 :: v_dual_mul_f32 v183, 0xbeb8f4ab, v161
	v_dual_mul_f32 v69, 0xbf7ee86f, v47 :: v_dual_mul_f32 v158, 0xbf7ee86f, v58
	v_dual_mul_f32 v143, 0x3eb8f4ab, v61 :: v_dual_mul_f32 v146, 0x3eb8f4ab, v60
	v_fmamk_f32 v105, v68, 0x3f6eb680, v182
	v_dual_fmamk_f32 v107, v34, 0x3f3d2fb0, v179 :: v_dual_fmamk_f32 v198, v68, 0x3f3d2fb0, v184
	v_dual_sub_f32 v46, v120, v64 :: v_dual_add_f32 v39, v74, v115
	v_dual_sub_f32 v54, v74, v115 :: v_dual_add_f32 v41, v75, v117
	v_dual_add_f32 v42, v123, v67 :: v_dual_sub_f32 v59, v124, v136
	v_dual_add_f32 v52, v111, v112 :: v_dual_mul_f32 v181, 0xbf2c7751, v45
	v_dual_mul_f32 v177, 0xbf65296c, v50 :: v_dual_mul_f32 v186, 0xbf65296c, v144
	s_delay_alu instid0(VALU_DEP_3)
	v_dual_mul_f32 v145, 0xbf7ee86f, v45 :: v_dual_mul_f32 v164, 0xbf7ee86f, v59
	v_dual_mul_f32 v138, 0xbf4c4adb, v50 :: v_dual_mul_f32 v153, 0xbf4c4adb, v47
	v_dual_mul_f32 v151, 0x3f763a35, v55 :: v_dual_add_f32 v198, v32, v198
	v_fma_f32 v106, 0x3f6eb680, v148, -v183
	v_dual_fmamk_f32 v199, v34, 0x3dbcf732, v69 :: v_dual_fmamk_f32 v226, v44, 0x3dbcf732, v158
	v_fma_f32 v200, 0x3f3d2fb0, v148, -v185
	v_fmamk_f32 v212, v51, 0x3f6eb680, v143
	v_dual_mul_f32 v140, 0x3f06c442, v56 :: v_dual_add_f32 v105, v32, v105
	v_dual_add_f32 v38, v121, v65 :: v_dual_add_f32 v43, v76, v116
	v_dual_mul_f32 v175, 0xbf7ee86f, v54 :: v_dual_mul_f32 v178, 0xbf7ee86f, v49
	v_dual_mul_f32 v173, 0xbf763a35, v56 :: v_dual_mul_f32 v176, 0xbf763a35, v53
	;; [unrolled: 1-line block ×3, first 2 shown]
	v_mul_f32_e32 v150, 0x3f06c442, v53
	v_dual_mul_f32 v141, 0x3f763a35, v57 :: v_dual_add_f32 v106, v33, v106
	v_dual_mul_f32 v142, 0x3f65296c, v58 :: v_dual_add_f32 v105, v107, v105
	;; [unrolled: 1-line block ×3, first 2 shown]
	v_fma_f32 v108, 0x3f3d2fb0, v35, -v181
	v_fma_f32 v201, 0x3dbcf732, v35, -v145
	v_fmamk_f32 v109, v36, 0x3ee437d1, v177
	v_dual_fmamk_f32 v202, v36, 0xbf1a4643, v138 :: v_dual_fmamk_f32 v215, v34, 0xbf1a4643, v153
	v_add_f32_e32 v107, v199, v198
	v_dual_mul_f32 v171, 0xbf4c4adb, v57 :: v_dual_mul_f32 v174, 0xbf4c4adb, v55
	v_fmamk_f32 v190, v40, 0xbe8c1d8e, v173
	v_fmamk_f32 v204, v38, 0xbf7ba420, v139
	v_add_f32_e32 v106, v108, v106
	v_add_f32_e32 v108, v201, v200
	v_dual_mul_f32 v154, 0x3e3c28d5, v50 :: v_dual_add_f32 v105, v109, v105
	v_add_f32_e32 v107, v202, v107
	v_fmamk_f32 v188, v38, 0x3dbcf732, v175
	v_dual_mul_f32 v169, 0xbf06c442, v58 :: v_dual_mul_f32 v172, 0xbf06c442, v59
	v_dual_mul_f32 v180, 0xbf65296c, v46 :: v_dual_mul_f32 v187, 0xbf65296c, v161
	s_delay_alu instid0(VALU_DEP_4) | instskip(NEXT) | instid1(VALU_DEP_4)
	v_dual_add_f32 v107, v204, v107 :: v_dual_fmamk_f32 v192, v42, 0xbf1a4643, v171
	v_add_f32_e32 v105, v188, v105
	s_delay_alu instid0(VALU_DEP_4) | instskip(SKIP_2) | instid1(VALU_DEP_4)
	v_fmamk_f32 v194, v44, 0xbf59a7d5, v169
	v_dual_mul_f32 v147, 0xbf4c4adb, v46 :: v_dual_mul_f32 v160, 0xbf4c4adb, v45
	v_fma_f32 v216, 0x3ee437d1, v148, -v187
	v_add_f32_e32 v105, v190, v105
	v_mul_f32_e32 v155, 0x3f763a35, v54
	v_dual_mul_f32 v170, 0xbe3c28d5, v60 :: v_dual_mul_f32 v149, 0xbe3c28d5, v49
	v_fma_f32 v217, 0xbf1a4643, v35, -v160
	s_delay_alu instid0(VALU_DEP_4)
	v_add_f32_e32 v105, v192, v105
	v_fmamk_f32 v214, v68, 0x3ee437d1, v186
	v_add_f32_e32 v216, v33, v216
	v_mul_f32_e32 v152, 0x3f65296c, v59
	v_fma_f32 v110, 0x3ee437d1, v37, -v180
	v_add_f32_e32 v105, v194, v105
	v_dual_mul_f32 v165, 0x3f763a35, v49 :: v_dual_add_f32 v214, v32, v214
	v_fma_f32 v203, 0xbf1a4643, v37, -v147
	v_fmamk_f32 v218, v36, 0xbf7ba420, v154
	v_fma_f32 v219, 0xbf7ba420, v37, -v163
	s_delay_alu instid0(VALU_DEP_4) | instskip(SKIP_3) | instid1(VALU_DEP_4)
	v_dual_add_f32 v199, v217, v216 :: v_dual_add_f32 v198, v215, v214
	v_dual_mul_f32 v156, 0x3f2c7751, v56 :: v_dual_mul_f32 v167, 0x3f2c7751, v53
	v_mul_f32_e32 v166, 0xbeb8f4ab, v55
	v_fma_f32 v189, 0x3dbcf732, v39, -v178
	v_add_f32_e32 v109, v218, v198
	v_fma_f32 v205, 0xbf7ba420, v39, -v149
	v_fmamk_f32 v220, v38, 0xbe8c1d8e, v155
	v_fma_f32 v221, 0xbe8c1d8e, v39, -v165
	v_add_f32_e32 v106, v110, v106
	v_add_f32_e32 v108, v203, v108
	;; [unrolled: 1-line block ×3, first 2 shown]
	v_fma_f32 v191, 0xbe8c1d8e, v41, -v176
	v_dual_fmamk_f32 v196, v51, 0xbf7ba420, v168 :: v_dual_add_f32 v109, v220, v109
	v_fma_f32 v207, 0xbf59a7d5, v41, -v150
	v_fmamk_f32 v222, v40, 0x3f3d2fb0, v156
	v_fmamk_f32 v206, v40, 0xbf59a7d5, v140
	v_fma_f32 v223, 0x3f3d2fb0, v41, -v167
	v_add_f32_e32 v106, v189, v106
	s_delay_alu instid0(VALU_DEP_4)
	v_dual_add_f32 v108, v205, v108 :: v_dual_add_f32 v109, v222, v109
	v_add_f32_e32 v110, v221, v110
	v_fma_f32 v193, 0xbf1a4643, v43, -v174
	v_fma_f32 v209, 0xbe8c1d8e, v43, -v151
	v_dual_fmamk_f32 v210, v44, 0x3ee437d1, v142 :: v_dual_add_f32 v107, v206, v107
	v_dual_fmamk_f32 v224, v42, 0x3f6eb680, v157 :: v_dual_add_f32 v105, v196, v105
	v_fmamk_f32 v208, v42, 0xbe8c1d8e, v141
	v_fma_f32 v225, 0x3f6eb680, v43, -v166
	s_delay_alu instid0(VALU_DEP_3)
	v_dual_add_f32 v106, v191, v106 :: v_dual_add_f32 v109, v224, v109
	v_add_f32_e32 v108, v207, v108
	v_dual_add_f32 v110, v223, v110 :: v_dual_mul_f32 v159, 0xbf06c442, v61
	v_mul_f32_e32 v162, 0xbf06c442, v60
	v_fma_f32 v195, 0xbf59a7d5, v48, -v172
	v_fma_f32 v211, 0x3ee437d1, v48, -v152
	;; [unrolled: 1-line block ×3, first 2 shown]
	v_dual_add_f32 v106, v193, v106 :: v_dual_add_f32 v107, v208, v107
	v_add_f32_e32 v108, v209, v108
	v_add_f32_e32 v110, v225, v110
	v_fma_f32 v197, 0xbf7ba420, v52, -v170
	v_fma_f32 v213, 0x3f6eb680, v52, -v146
	;; [unrolled: 1-line block ×3, first 2 shown]
	v_dual_add_f32 v106, v195, v106 :: v_dual_add_f32 v107, v210, v107
	v_fmamk_f32 v228, v51, 0xbf59a7d5, v159
	v_dual_add_f32 v108, v211, v108 :: v_dual_add_f32 v109, v226, v109
	s_delay_alu instid0(VALU_DEP_3) | instskip(NEXT) | instid1(VALU_DEP_4)
	v_dual_add_f32 v110, v227, v110 :: v_dual_add_f32 v107, v212, v107
	v_add_f32_e32 v106, v197, v106
	s_delay_alu instid0(VALU_DEP_3) | instskip(NEXT) | instid1(VALU_DEP_3)
	v_dual_add_f32 v108, v213, v108 :: v_dual_add_f32 v109, v228, v109
	v_add_f32_e32 v110, v229, v110
	s_and_saveexec_b32 s1, s0
	s_cbranch_execz .LBB0_11
; %bb.10:
	v_mul_f32_e32 v188, 0x3ee437d1, v148
	v_mul_f32_e32 v192, 0xbf59a7d5, v148
	v_mul_f32_e32 v190, 0xbf7ba420, v148
	v_mul_f32_e32 v195, 0xbe8c1d8e, v148
	v_mul_f32_e32 v194, 0xbf1a4643, v148
	v_add_f32_e32 v187, v187, v188
	v_mul_f32_e32 v188, 0x3ee437d1, v68
	v_fmamk_f32 v193, v161, 0x3f06c442, v192
	v_fmamk_f32 v191, v161, 0x3e3c28d5, v190
	v_mul_f32_e32 v202, 0xbf7ee86f, v144
	v_add_f32_e32 v118, v33, v118
	v_sub_f32_e32 v186, v188, v186
	s_delay_alu instid0(VALU_DEP_4) | instskip(SKIP_3) | instid1(VALU_DEP_4)
	v_dual_mul_f32 v188, 0x3f3d2fb0, v148 :: v_dual_add_f32 v191, v33, v191
	v_fmac_f32_e32 v190, 0xbe3c28d5, v161
	v_fma_f32 v206, 0x3dbcf732, v68, -v202
	v_fmac_f32_e32 v202, 0x3dbcf732, v68
	v_add_f32_e32 v185, v185, v188
	v_dual_mul_f32 v188, 0x3f3d2fb0, v68 :: v_dual_add_f32 v187, v33, v187
	v_dual_add_f32 v190, v33, v190 :: v_dual_add_f32 v137, v32, v137
	s_delay_alu instid0(VALU_DEP_2) | instskip(SKIP_1) | instid1(VALU_DEP_1)
	v_dual_add_f32 v185, v33, v185 :: v_dual_sub_f32 v184, v188, v184
	v_mul_f32_e32 v188, 0x3f6eb680, v148
	v_add_f32_e32 v188, v183, v188
	v_mul_f32_e32 v183, 0x3f6eb680, v68
	s_delay_alu instid0(VALU_DEP_1)
	v_sub_f32_e32 v189, v183, v182
	v_fmamk_f32 v183, v161, 0x3f763a35, v195
	v_fmac_f32_e32 v195, 0xbf763a35, v161
	v_fmamk_f32 v182, v161, 0x3f4c4adb, v194
	v_fmac_f32_e32 v194, 0xbf4c4adb, v161
	v_dual_add_f32 v189, v32, v189 :: v_dual_add_f32 v188, v33, v188
	s_delay_alu instid0(VALU_DEP_4) | instskip(NEXT) | instid1(VALU_DEP_3)
	v_dual_add_f32 v195, v33, v195 :: v_dual_fmac_f32 v192, 0xbf06c442, v161
	v_dual_mul_f32 v161, 0xbf7ee86f, v161 :: v_dual_add_f32 v194, v33, v194
	s_delay_alu instid0(VALU_DEP_1) | instskip(SKIP_3) | instid1(VALU_DEP_4)
	v_fmamk_f32 v196, v148, 0x3dbcf732, v161
	v_fma_f32 v197, 0x3dbcf732, v148, -v161
	v_mul_f32_e32 v148, 0xbe3c28d5, v144
	v_mul_f32_e32 v161, 0xbf763a35, v144
	v_add_f32_e32 v196, v33, v196
	s_delay_alu instid0(VALU_DEP_3) | instskip(SKIP_3) | instid1(VALU_DEP_2)
	v_fmamk_f32 v198, v68, 0xbf7ba420, v148
	v_fma_f32 v199, 0xbf7ba420, v68, -v148
	v_mul_f32_e32 v148, 0xbf06c442, v144
	v_fma_f32 v205, 0xbe8c1d8e, v68, -v161
	v_fmamk_f32 v200, v68, 0xbf59a7d5, v148
	v_fma_f32 v201, 0xbf59a7d5, v68, -v148
	v_mul_f32_e32 v148, 0xbf4c4adb, v144
	s_delay_alu instid0(VALU_DEP_1) | instskip(SKIP_2) | instid1(VALU_DEP_1)
	v_dual_add_f32 v144, v33, v183 :: v_dual_fmamk_f32 v203, v68, 0xbf1a4643, v148
	v_fma_f32 v204, 0xbf1a4643, v68, -v148
	v_fmamk_f32 v148, v68, 0xbe8c1d8e, v161
	v_add_f32_e32 v68, v32, v148
	v_dual_add_f32 v148, v32, v200 :: v_dual_add_f32 v161, v33, v193
	v_add_f32_e32 v193, v32, v198
	v_add_f32_e32 v198, v32, v199
	;; [unrolled: 1-line block ×4, first 2 shown]
	v_dual_add_f32 v183, v33, v182 :: v_dual_add_f32 v182, v32, v203
	v_dual_add_f32 v203, v32, v206 :: v_dual_add_f32 v192, v33, v192
	v_add_f32_e32 v33, v33, v197
	v_mul_f32_e32 v197, 0x3f3d2fb0, v35
	s_delay_alu instid0(VALU_DEP_1) | instskip(SKIP_1) | instid1(VALU_DEP_2)
	v_dual_add_f32 v181, v181, v197 :: v_dual_add_f32 v186, v32, v186
	v_mul_f32_e32 v197, 0x3f3d2fb0, v34
	v_dual_add_f32 v181, v181, v188 :: v_dual_mul_f32 v188, 0x3ee437d1, v37
	s_delay_alu instid0(VALU_DEP_1) | instskip(NEXT) | instid1(VALU_DEP_1)
	v_dual_sub_f32 v179, v197, v179 :: v_dual_add_f32 v180, v180, v188
	v_dual_mul_f32 v188, 0x3ee437d1, v36 :: v_dual_add_f32 v179, v179, v189
	s_delay_alu instid0(VALU_DEP_1) | instskip(NEXT) | instid1(VALU_DEP_1)
	v_sub_f32_e32 v177, v188, v177
	v_dual_add_f32 v200, v32, v204 :: v_dual_add_f32 v177, v177, v179
	v_dual_mul_f32 v179, 0x3dbcf732, v38 :: v_dual_add_f32 v184, v32, v184
	s_delay_alu instid0(VALU_DEP_1) | instskip(SKIP_1) | instid1(VALU_DEP_2)
	v_dual_add_f32 v32, v32, v202 :: v_dual_sub_f32 v175, v179, v175
	v_mul_f32_e32 v179, 0xbe8c1d8e, v41
	v_add_f32_e32 v175, v175, v177
	s_delay_alu instid0(VALU_DEP_2) | instskip(SKIP_3) | instid1(VALU_DEP_4)
	v_dual_mul_f32 v177, 0xbe8c1d8e, v40 :: v_dual_add_f32 v176, v176, v179
	v_add_f32_e32 v72, v118, v72
	v_add_f32_e32 v118, v137, v119
	v_mul_f32_e32 v119, 0xbf06c442, v55
	v_sub_f32_e32 v173, v177, v173
	v_dual_add_f32 v180, v180, v181 :: v_dual_mul_f32 v177, 0xbf1a4643, v43
	v_dual_mul_f32 v181, 0x3dbcf732, v39 :: v_dual_add_f32 v72, v72, v73
	v_add_f32_e32 v73, v118, v120
	s_delay_alu instid0(VALU_DEP_4) | instskip(NEXT) | instid1(VALU_DEP_3)
	v_add_f32_e32 v173, v173, v175
	v_dual_mul_f32 v175, 0xbf1a4643, v42 :: v_dual_add_f32 v178, v178, v181
	v_add_f32_e32 v174, v174, v177
	s_delay_alu instid0(VALU_DEP_4) | instskip(SKIP_1) | instid1(VALU_DEP_4)
	v_add_f32_e32 v73, v73, v121
	v_mul_f32_e32 v121, 0x3f4c4adb, v59
	v_dual_sub_f32 v171, v175, v171 :: v_dual_add_f32 v178, v178, v180
	v_mul_f32_e32 v175, 0xbf59a7d5, v48
	s_delay_alu instid0(VALU_DEP_4) | instskip(NEXT) | instid1(VALU_DEP_3)
	v_add_f32_e32 v73, v73, v122
	v_dual_add_f32 v72, v72, v74 :: v_dual_add_f32 v171, v171, v173
	s_delay_alu instid0(VALU_DEP_4) | instskip(NEXT) | instid1(VALU_DEP_4)
	v_dual_add_f32 v176, v176, v178 :: v_dual_mul_f32 v173, 0xbf59a7d5, v44
	v_add_f32_e32 v172, v172, v175
	s_delay_alu instid0(VALU_DEP_4) | instskip(NEXT) | instid1(VALU_DEP_4)
	v_add_f32_e32 v73, v73, v123
	v_add_f32_e32 v72, v72, v75
	s_delay_alu instid0(VALU_DEP_4) | instskip(SKIP_1) | instid1(VALU_DEP_4)
	v_dual_fmamk_f32 v122, v48, 0xbf1a4643, v121 :: v_dual_sub_f32 v169, v173, v169
	v_mul_f32_e32 v173, 0xbf7ba420, v52
	v_add_f32_e32 v73, v73, v124
	s_delay_alu instid0(VALU_DEP_4) | instskip(NEXT) | instid1(VALU_DEP_4)
	v_add_f32_e32 v72, v72, v76
	v_dual_add_f32 v174, v174, v176 :: v_dual_add_f32 v171, v169, v171
	s_delay_alu instid0(VALU_DEP_4) | instskip(NEXT) | instid1(VALU_DEP_4)
	v_add_f32_e32 v170, v170, v173
	v_add_f32_e32 v73, v73, v125
	s_delay_alu instid0(VALU_DEP_4) | instskip(NEXT) | instid1(VALU_DEP_4)
	v_add_f32_e32 v72, v72, v77
	v_dual_add_f32 v172, v172, v174 :: v_dual_mul_f32 v169, 0xbf7ba420, v51
	v_dual_mul_f32 v75, 0xbf65296c, v54 :: v_dual_mul_f32 v118, 0xbf65296c, v53
	s_delay_alu instid0(VALU_DEP_3) | instskip(SKIP_2) | instid1(VALU_DEP_3)
	v_dual_add_f32 v73, v73, v126 :: v_dual_add_f32 v72, v72, v111
	v_dual_mul_f32 v77, 0xbe3c28d5, v56 :: v_dual_mul_f32 v120, 0xbe3c28d5, v47
	v_mul_f32_e32 v137, 0x3f2c7751, v60
	v_add_f32_e32 v73, v73, v136
	s_delay_alu instid0(VALU_DEP_4) | instskip(NEXT) | instid1(VALU_DEP_2)
	v_dual_add_f32 v72, v72, v112 :: v_dual_mul_f32 v111, 0x3f7ee86f, v57
	v_dual_mul_f32 v112, 0xbeb8f4ab, v58 :: v_dual_add_f32 v67, v73, v67
	s_delay_alu instid0(VALU_DEP_2) | instskip(SKIP_2) | instid1(VALU_DEP_4)
	v_add_f32_e32 v72, v72, v114
	v_mul_f32_e32 v73, 0x3f2c7751, v50
	v_mul_f32_e32 v114, 0xbf4c4adb, v61
	v_add_f32_e32 v66, v67, v66
	s_delay_alu instid0(VALU_DEP_4) | instskip(NEXT) | instid1(VALU_DEP_2)
	v_add_f32_e32 v72, v72, v116
	v_dual_mul_f32 v116, 0x3f763a35, v46 :: v_dual_add_f32 v65, v66, v65
	s_delay_alu instid0(VALU_DEP_2) | instskip(SKIP_1) | instid1(VALU_DEP_2)
	v_add_f32_e32 v72, v72, v117
	v_dual_sub_f32 v168, v169, v168 :: v_dual_mul_f32 v117, 0x3eb8f4ab, v49
	v_dual_add_f32 v64, v65, v64 :: v_dual_add_f32 v67, v72, v115
	s_delay_alu instid0(VALU_DEP_2) | instskip(NEXT) | instid1(VALU_DEP_2)
	v_dual_add_f32 v169, v170, v172 :: v_dual_add_f32 v168, v168, v171
	v_dual_mul_f32 v115, 0xbe3c28d5, v45 :: v_dual_add_f32 v64, v64, v63
	s_delay_alu instid0(VALU_DEP_3) | instskip(NEXT) | instid1(VALU_DEP_1)
	v_add_f32_e32 v66, v67, v113
	v_add_f32_e32 v65, v66, v71
	v_mul_f32_e32 v71, 0x3f06c442, v47
	s_delay_alu instid0(VALU_DEP_2) | instskip(SKIP_1) | instid1(VALU_DEP_1)
	v_add_f32_e32 v63, v65, v70
	v_mul_f32_e32 v65, 0x3f6eb680, v43
	v_dual_add_f32 v65, v166, v65 :: v_dual_add_f32 v62, v64, v62
	v_and_b32_e32 v64, 0xffff, v130
	s_delay_alu instid0(VALU_DEP_1) | instskip(NEXT) | instid1(VALU_DEP_1)
	v_mul_u32_u24_e32 v64, 51, v64
	v_add_lshl_u32 v66, v64, v129, 3
	v_mul_f32_e32 v64, 0xbf1a4643, v34
	ds_store_2addr_b64 v66, v[62:63], v[168:169] offset1:3
	v_sub_f32_e32 v64, v64, v153
	v_mul_f32_e32 v62, 0xbf1a4643, v35
	v_mul_f32_e32 v63, 0xbf7ba420, v37
	;; [unrolled: 1-line block ×3, first 2 shown]
	s_delay_alu instid0(VALU_DEP_3) | instskip(NEXT) | instid1(VALU_DEP_3)
	v_dual_mul_f32 v169, 0x3f65296c, v61 :: v_dual_add_f32 v62, v160, v62
	v_add_f32_e32 v63, v163, v63
	s_delay_alu instid0(VALU_DEP_2) | instskip(NEXT) | instid1(VALU_DEP_1)
	v_add_f32_e32 v62, v62, v187
	v_dual_add_f32 v62, v63, v62 :: v_dual_mul_f32 v63, 0xbe8c1d8e, v39
	s_delay_alu instid0(VALU_DEP_1) | instskip(NEXT) | instid1(VALU_DEP_1)
	v_add_f32_e32 v63, v165, v63
	v_dual_add_f32 v62, v63, v62 :: v_dual_mul_f32 v63, 0x3f3d2fb0, v41
	s_delay_alu instid0(VALU_DEP_1) | instskip(NEXT) | instid1(VALU_DEP_1)
	v_add_f32_e32 v63, v167, v63
	v_add_f32_e32 v62, v63, v62
	s_delay_alu instid0(VALU_DEP_1) | instskip(NEXT) | instid1(VALU_DEP_1)
	v_dual_add_f32 v62, v65, v62 :: v_dual_mul_f32 v65, 0x3dbcf732, v48
	v_add_f32_e32 v65, v164, v65
	s_delay_alu instid0(VALU_DEP_1) | instskip(SKIP_1) | instid1(VALU_DEP_1)
	v_dual_add_f32 v62, v65, v62 :: v_dual_mul_f32 v65, 0xbf59a7d5, v52
	v_dual_add_f32 v63, v64, v186 :: v_dual_mul_f32 v64, 0xbf7ba420, v36
	v_dual_add_f32 v65, v162, v65 :: v_dual_sub_f32 v64, v64, v154
	s_delay_alu instid0(VALU_DEP_1) | instskip(NEXT) | instid1(VALU_DEP_1)
	v_dual_add_f32 v63, v64, v63 :: v_dual_mul_f32 v64, 0xbe8c1d8e, v38
	v_sub_f32_e32 v64, v64, v155
	v_mul_f32_e32 v155, 0x3f763a35, v47
	s_delay_alu instid0(VALU_DEP_2) | instskip(NEXT) | instid1(VALU_DEP_1)
	v_dual_add_f32 v63, v64, v63 :: v_dual_mul_f32 v64, 0x3f3d2fb0, v40
	v_sub_f32_e32 v64, v64, v156
	s_delay_alu instid0(VALU_DEP_1) | instskip(SKIP_1) | instid1(VALU_DEP_1)
	v_dual_mul_f32 v156, 0x3f6eb680, v37 :: v_dual_add_f32 v63, v64, v63
	v_mul_f32_e32 v64, 0x3f6eb680, v42
	v_dual_sub_f32 v64, v64, v157 :: v_dual_fmamk_f32 v157, v46, 0x3eb8f4ab, v156
	s_delay_alu instid0(VALU_DEP_1) | instskip(SKIP_1) | instid1(VALU_DEP_1)
	v_dual_fmac_f32 v156, 0xbeb8f4ab, v46 :: v_dual_add_f32 v63, v64, v63
	v_mul_f32_e32 v64, 0x3dbcf732, v44
	v_sub_f32_e32 v64, v64, v158
	s_delay_alu instid0(VALU_DEP_1) | instskip(SKIP_1) | instid1(VALU_DEP_1)
	v_add_f32_e32 v64, v64, v63
	v_mul_f32_e32 v63, 0xbf59a7d5, v51
	v_sub_f32_e32 v67, v63, v159
	v_add_f32_e32 v63, v65, v62
	s_delay_alu instid0(VALU_DEP_2) | instskip(SKIP_1) | instid1(VALU_DEP_2)
	v_dual_mul_f32 v65, 0xbf1a4643, v37 :: v_dual_add_f32 v62, v67, v64
	v_dual_mul_f32 v67, 0x3dbcf732, v34 :: v_dual_mul_f32 v64, 0x3dbcf732, v35
	v_add_f32_e32 v65, v147, v65
	s_delay_alu instid0(VALU_DEP_2) | instskip(SKIP_1) | instid1(VALU_DEP_4)
	v_sub_f32_e32 v67, v67, v69
	v_mul_f32_e32 v69, 0xbf1a4643, v36
	v_add_f32_e32 v64, v145, v64
	s_delay_alu instid0(VALU_DEP_3) | instskip(NEXT) | instid1(VALU_DEP_3)
	v_add_f32_e32 v67, v67, v184
	v_dual_sub_f32 v69, v69, v138 :: v_dual_mul_f32 v138, 0x3f2c7751, v61
	v_mul_f32_e32 v61, 0x3f7ee86f, v61
	s_delay_alu instid0(VALU_DEP_2) | instskip(SKIP_1) | instid1(VALU_DEP_1)
	v_dual_mul_f32 v174, 0x3dbcf732, v52 :: v_dual_add_f32 v67, v69, v67
	v_dual_mul_f32 v69, 0xbf7ba420, v38 :: v_dual_add_f32 v64, v64, v185
	v_sub_f32_e32 v69, v69, v139
	s_delay_alu instid0(VALU_DEP_2) | instskip(SKIP_1) | instid1(VALU_DEP_3)
	v_dual_add_f32 v64, v65, v64 :: v_dual_mul_f32 v65, 0xbf7ba420, v39
	v_mul_f32_e32 v139, 0x3f65296c, v47
	v_add_f32_e32 v67, v69, v67
	v_mul_f32_e32 v69, 0xbf59a7d5, v40
	s_delay_alu instid0(VALU_DEP_4) | instskip(SKIP_1) | instid1(VALU_DEP_3)
	v_add_f32_e32 v65, v149, v65
	v_mul_f32_e32 v149, 0xbe3c28d5, v57
	v_sub_f32_e32 v69, v69, v140
	s_delay_alu instid0(VALU_DEP_3) | instskip(NEXT) | instid1(VALU_DEP_2)
	v_dual_add_f32 v64, v65, v64 :: v_dual_mul_f32 v65, 0xbf59a7d5, v41
	v_add_f32_e32 v67, v69, v67
	v_mul_f32_e32 v69, 0xbe8c1d8e, v42
	s_delay_alu instid0(VALU_DEP_3) | instskip(NEXT) | instid1(VALU_DEP_2)
	v_add_f32_e32 v65, v150, v65
	v_sub_f32_e32 v69, v69, v141
	s_delay_alu instid0(VALU_DEP_2) | instskip(SKIP_1) | instid1(VALU_DEP_2)
	v_dual_add_f32 v64, v65, v64 :: v_dual_mul_f32 v65, 0xbe8c1d8e, v43
	v_mul_f32_e32 v141, 0xbf7ee86f, v50
	v_add_f32_e32 v65, v151, v65
	s_delay_alu instid0(VALU_DEP_1) | instskip(SKIP_1) | instid1(VALU_DEP_1)
	v_dual_mul_f32 v151, 0x3f2c7751, v58 :: v_dual_add_f32 v64, v65, v64
	v_mul_f32_e32 v65, 0x3ee437d1, v48
	v_add_f32_e32 v65, v152, v65
	s_delay_alu instid0(VALU_DEP_1) | instskip(SKIP_3) | instid1(VALU_DEP_2)
	v_add_f32_e32 v64, v65, v64
	v_add_f32_e32 v65, v69, v67
	v_mul_f32_e32 v67, 0x3ee437d1, v44
	v_mul_f32_e32 v69, 0x3f6eb680, v52
	v_sub_f32_e32 v67, v67, v142
	s_delay_alu instid0(VALU_DEP_2) | instskip(NEXT) | instid1(VALU_DEP_2)
	v_add_f32_e32 v69, v146, v69
	v_add_f32_e32 v67, v67, v65
	v_mul_f32_e32 v65, 0x3f6eb680, v51
	s_delay_alu instid0(VALU_DEP_1) | instskip(NEXT) | instid1(VALU_DEP_4)
	v_sub_f32_e32 v70, v65, v143
	v_add_f32_e32 v65, v69, v64
	s_delay_alu instid0(VALU_DEP_2)
	v_dual_mul_f32 v143, 0x3f4c4adb, v54 :: v_dual_add_f32 v64, v70, v67
	ds_store_2addr_b64 v66, v[64:65], v[62:63] offset0:6 offset1:9
	v_mul_f32_e32 v62, 0xbf59a7d5, v35
	v_mul_f32_e32 v63, 0x3f3d2fb0, v37
	v_fmamk_f32 v65, v37, 0xbe8c1d8e, v116
	v_mul_f32_e32 v64, 0xbf7ba420, v41
	s_delay_alu instid0(VALU_DEP_4)
	v_fmamk_f32 v67, v45, 0xbf06c442, v62
	v_fmac_f32_e32 v62, 0x3f06c442, v45
	v_fmamk_f32 v69, v46, 0xbf2c7751, v63
	v_fmac_f32_e32 v63, 0x3f2c7751, v46
	;; [unrolled: 2-line block ×3, first 2 shown]
	v_add_f32_e32 v62, v62, v195
	s_delay_alu instid0(VALU_DEP_1) | instskip(NEXT) | instid1(VALU_DEP_1)
	v_dual_add_f32 v62, v63, v62 :: v_dual_mul_f32 v63, 0x3ee437d1, v39
	v_fmamk_f32 v70, v49, 0x3f65296c, v63
	v_fmac_f32_e32 v63, 0xbf65296c, v49
	s_delay_alu instid0(VALU_DEP_1) | instskip(SKIP_1) | instid1(VALU_DEP_1)
	v_add_f32_e32 v62, v63, v62
	v_fma_f32 v63, 0xbf59a7d5, v34, -v71
	v_dual_add_f32 v62, v64, v62 :: v_dual_add_f32 v63, v63, v201
	v_fma_f32 v64, 0x3f3d2fb0, v36, -v73
	s_delay_alu instid0(VALU_DEP_1) | instskip(SKIP_1) | instid1(VALU_DEP_1)
	v_add_f32_e32 v63, v64, v63
	v_mul_f32_e32 v64, 0x3dbcf732, v43
	v_fmamk_f32 v74, v55, 0xbf7ee86f, v64
	v_fmac_f32_e32 v64, 0x3f7ee86f, v55
	s_delay_alu instid0(VALU_DEP_1) | instskip(SKIP_1) | instid1(VALU_DEP_1)
	v_add_f32_e32 v62, v64, v62
	v_fma_f32 v64, 0x3ee437d1, v38, -v75
	v_dual_add_f32 v63, v64, v63 :: v_dual_mul_f32 v64, 0x3f6eb680, v48
	s_delay_alu instid0(VALU_DEP_1) | instskip(SKIP_1) | instid1(VALU_DEP_1)
	v_fmamk_f32 v76, v59, 0x3eb8f4ab, v64
	v_fmac_f32_e32 v64, 0xbeb8f4ab, v59
	v_add_f32_e32 v62, v64, v62
	v_fma_f32 v64, 0xbf7ba420, v40, -v77
	s_delay_alu instid0(VALU_DEP_1) | instskip(SKIP_1) | instid1(VALU_DEP_1)
	v_add_f32_e32 v63, v64, v63
	v_fma_f32 v64, 0x3dbcf732, v42, -v111
	v_add_f32_e32 v63, v64, v63
	v_fma_f32 v64, 0x3f6eb680, v44, -v112
	s_delay_alu instid0(VALU_DEP_1) | instskip(NEXT) | instid1(VALU_DEP_1)
	v_dual_add_f32 v64, v64, v63 :: v_dual_mul_f32 v63, 0xbf1a4643, v52
	v_fmamk_f32 v113, v60, 0x3f4c4adb, v63
	v_fmac_f32_e32 v63, 0xbf4c4adb, v60
	s_delay_alu instid0(VALU_DEP_1) | instskip(SKIP_1) | instid1(VALU_DEP_1)
	v_add_f32_e32 v63, v63, v62
	v_fma_f32 v62, 0xbf1a4643, v51, -v114
	v_add_f32_e32 v62, v62, v64
	v_fmamk_f32 v64, v35, 0xbf7ba420, v115
	s_delay_alu instid0(VALU_DEP_1) | instskip(NEXT) | instid1(VALU_DEP_1)
	v_add_f32_e32 v64, v64, v196
	v_dual_add_f32 v64, v65, v64 :: v_dual_fmamk_f32 v65, v39, 0x3f6eb680, v117
	s_delay_alu instid0(VALU_DEP_1) | instskip(SKIP_1) | instid1(VALU_DEP_1)
	v_add_f32_e32 v64, v65, v64
	v_fmamk_f32 v65, v41, 0x3ee437d1, v118
	v_dual_add_f32 v64, v65, v64 :: v_dual_fmamk_f32 v65, v43, 0xbf59a7d5, v119
	s_delay_alu instid0(VALU_DEP_1) | instskip(SKIP_1) | instid1(VALU_DEP_2)
	v_add_f32_e32 v64, v65, v64
	v_fma_f32 v65, 0xbf7ba420, v34, -v120
	v_add_f32_e32 v64, v122, v64
	s_delay_alu instid0(VALU_DEP_2) | instskip(NEXT) | instid1(VALU_DEP_1)
	v_dual_mul_f32 v122, 0x3f763a35, v50 :: v_dual_add_f32 v65, v65, v203
	v_fma_f32 v123, 0xbe8c1d8e, v36, -v122
	s_delay_alu instid0(VALU_DEP_1) | instskip(SKIP_1) | instid1(VALU_DEP_1)
	v_add_f32_e32 v65, v123, v65
	v_mul_f32_e32 v123, 0x3eb8f4ab, v54
	v_fma_f32 v124, 0x3f6eb680, v38, -v123
	s_delay_alu instid0(VALU_DEP_1) | instskip(NEXT) | instid1(VALU_DEP_1)
	v_dual_add_f32 v65, v124, v65 :: v_dual_mul_f32 v124, 0xbf65296c, v56
	v_fma_f32 v125, 0x3ee437d1, v40, -v124
	s_delay_alu instid0(VALU_DEP_1) | instskip(SKIP_1) | instid1(VALU_DEP_1)
	v_add_f32_e32 v65, v125, v65
	v_mul_f32_e32 v125, 0xbf06c442, v57
	v_fma_f32 v126, 0xbf59a7d5, v42, -v125
	s_delay_alu instid0(VALU_DEP_1) | instskip(SKIP_1) | instid1(VALU_DEP_2)
	v_dual_add_f32 v65, v126, v65 :: v_dual_mul_f32 v126, 0x3f4c4adb, v58
	v_fmac_f32_e32 v124, 0x3ee437d1, v40
	v_fma_f32 v136, 0xbf1a4643, v44, -v126
	v_fmac_f32_e32 v126, 0xbf1a4643, v44
	s_delay_alu instid0(VALU_DEP_2) | instskip(SKIP_1) | instid1(VALU_DEP_1)
	v_add_f32_e32 v136, v136, v65
	v_fmamk_f32 v65, v52, 0x3f3d2fb0, v137
	v_add_f32_e32 v65, v65, v64
	v_fma_f32 v64, 0x3f3d2fb0, v51, -v138
	v_fmac_f32_e32 v138, 0x3f3d2fb0, v51
	s_delay_alu instid0(VALU_DEP_2)
	v_add_f32_e32 v64, v64, v136
	ds_store_2addr_b64 v66, v[64:65], v[62:63] offset0:12 offset1:15
	v_mul_f32_e32 v62, 0x3ee437d1, v35
	v_fma_f32 v63, 0x3ee437d1, v34, -v139
	v_mul_f32_e32 v64, 0x3dbcf732, v37
	v_fma_f32 v65, 0xbe8c1d8e, v34, -v155
	s_delay_alu instid0(VALU_DEP_3) | instskip(SKIP_1) | instid1(VALU_DEP_4)
	v_dual_fmamk_f32 v136, v45, 0xbf65296c, v62 :: v_dual_add_f32 v63, v63, v199
	v_fmac_f32_e32 v62, 0x3f65296c, v45
	v_fmamk_f32 v140, v46, 0x3f7ee86f, v64
	s_delay_alu instid0(VALU_DEP_4) | instskip(NEXT) | instid1(VALU_DEP_3)
	v_dual_fmac_f32 v64, 0xbf7ee86f, v46 :: v_dual_add_f32 v65, v65, v200
	v_add_f32_e32 v62, v62, v192
	s_delay_alu instid0(VALU_DEP_1) | instskip(SKIP_1) | instid1(VALU_DEP_1)
	v_add_f32_e32 v62, v64, v62
	v_fma_f32 v64, 0x3dbcf732, v36, -v141
	v_add_f32_e32 v63, v64, v63
	v_mul_f32_e32 v64, 0xbf1a4643, v39
	s_delay_alu instid0(VALU_DEP_1) | instskip(SKIP_1) | instid1(VALU_DEP_1)
	v_fmamk_f32 v142, v49, 0xbf4c4adb, v64
	v_fmac_f32_e32 v64, 0x3f4c4adb, v49
	v_add_f32_e32 v62, v64, v62
	v_fma_f32 v64, 0xbf1a4643, v38, -v143
	s_delay_alu instid0(VALU_DEP_1) | instskip(SKIP_1) | instid1(VALU_DEP_2)
	v_dual_add_f32 v63, v64, v63 :: v_dual_mul_f32 v64, 0x3f6eb680, v41
	v_mul_f32_e32 v146, 0xbeb8f4ab, v56
	v_fmamk_f32 v145, v53, 0x3eb8f4ab, v64
	v_fmac_f32_e32 v64, 0xbeb8f4ab, v53
	s_delay_alu instid0(VALU_DEP_1) | instskip(NEXT) | instid1(VALU_DEP_4)
	v_add_f32_e32 v62, v64, v62
	v_fma_f32 v64, 0x3f6eb680, v40, -v146
	s_delay_alu instid0(VALU_DEP_1) | instskip(SKIP_1) | instid1(VALU_DEP_1)
	v_add_f32_e32 v63, v64, v63
	v_mul_f32_e32 v64, 0xbf7ba420, v43
	v_fmamk_f32 v147, v55, 0x3e3c28d5, v64
	v_fmac_f32_e32 v64, 0xbe3c28d5, v55
	s_delay_alu instid0(VALU_DEP_1) | instskip(SKIP_1) | instid1(VALU_DEP_1)
	v_add_f32_e32 v62, v64, v62
	v_fma_f32 v64, 0xbf7ba420, v42, -v149
	v_dual_add_f32 v63, v64, v63 :: v_dual_mul_f32 v64, 0x3f3d2fb0, v48
	s_delay_alu instid0(VALU_DEP_1) | instskip(SKIP_1) | instid1(VALU_DEP_1)
	v_fmamk_f32 v150, v59, 0xbf2c7751, v64
	v_fmac_f32_e32 v64, 0x3f2c7751, v59
	v_add_f32_e32 v62, v64, v62
	v_fma_f32 v64, 0x3f3d2fb0, v44, -v151
	s_delay_alu instid0(VALU_DEP_1) | instskip(SKIP_2) | instid1(VALU_DEP_2)
	v_dual_fmac_f32 v125, 0xbf59a7d5, v42 :: v_dual_add_f32 v64, v64, v63
	v_mul_f32_e32 v63, 0xbe8c1d8e, v52
	v_fmac_f32_e32 v123, 0x3f6eb680, v38
	v_fmamk_f32 v152, v60, 0x3f763a35, v63
	v_fmac_f32_e32 v63, 0xbf763a35, v60
	s_delay_alu instid0(VALU_DEP_1) | instskip(SKIP_1) | instid1(VALU_DEP_1)
	v_add_f32_e32 v63, v63, v62
	v_fma_f32 v62, 0xbe8c1d8e, v51, -v153
	v_add_f32_e32 v62, v62, v64
	v_mul_f32_e32 v64, 0xbe8c1d8e, v35
	s_delay_alu instid0(VALU_DEP_1) | instskip(SKIP_1) | instid1(VALU_DEP_1)
	v_fmamk_f32 v154, v45, 0xbf763a35, v64
	v_fmac_f32_e32 v64, 0x3f763a35, v45
	v_add_f32_e32 v64, v64, v194
	s_delay_alu instid0(VALU_DEP_1) | instskip(SKIP_2) | instid1(VALU_DEP_2)
	v_add_f32_e32 v64, v156, v64
	v_mul_f32_e32 v156, 0xbeb8f4ab, v50
	v_mul_f32_e32 v50, 0xbf06c442, v50
	v_fma_f32 v158, 0x3f6eb680, v36, -v156
	s_delay_alu instid0(VALU_DEP_2) | instskip(NEXT) | instid1(VALU_DEP_2)
	v_fmamk_f32 v173, v36, 0xbf59a7d5, v50
	v_dual_add_f32 v65, v158, v65 :: v_dual_mul_f32 v158, 0xbf59a7d5, v39
	s_delay_alu instid0(VALU_DEP_1) | instskip(SKIP_1) | instid1(VALU_DEP_1)
	v_fmamk_f32 v159, v49, 0x3f06c442, v158
	v_fmac_f32_e32 v158, 0xbf06c442, v49
	v_add_f32_e32 v64, v158, v64
	v_mul_f32_e32 v158, 0xbf06c442, v54
	s_delay_alu instid0(VALU_DEP_1) | instskip(NEXT) | instid1(VALU_DEP_1)
	v_fma_f32 v160, 0xbf59a7d5, v38, -v158
	v_add_f32_e32 v65, v160, v65
	v_mul_f32_e32 v160, 0x3dbcf732, v41
	s_delay_alu instid0(VALU_DEP_1) | instskip(SKIP_1) | instid1(VALU_DEP_1)
	v_fmamk_f32 v162, v53, 0xbf7ee86f, v160
	v_fmac_f32_e32 v160, 0x3f7ee86f, v53
	v_add_f32_e32 v64, v160, v64
	v_mul_f32_e32 v160, 0x3f7ee86f, v56
	s_delay_alu instid0(VALU_DEP_1) | instskip(NEXT) | instid1(VALU_DEP_1)
	v_fma_f32 v163, 0x3dbcf732, v40, -v160
	v_add_f32_e32 v65, v163, v65
	v_mul_f32_e32 v163, 0x3f3d2fb0, v43
	s_delay_alu instid0(VALU_DEP_1) | instskip(SKIP_1) | instid1(VALU_DEP_1)
	v_fmamk_f32 v164, v55, 0x3f2c7751, v163
	v_fmac_f32_e32 v163, 0xbf2c7751, v55
	v_dual_add_f32 v64, v163, v64 :: v_dual_mul_f32 v163, 0xbf2c7751, v57
	s_delay_alu instid0(VALU_DEP_1) | instskip(NEXT) | instid1(VALU_DEP_1)
	v_fma_f32 v165, 0x3f3d2fb0, v42, -v163
	v_add_f32_e32 v65, v165, v65
	v_mul_f32_e32 v165, 0xbf7ba420, v48
	s_delay_alu instid0(VALU_DEP_1) | instskip(SKIP_1) | instid1(VALU_DEP_1)
	v_fmamk_f32 v166, v59, 0x3e3c28d5, v165
	v_fmac_f32_e32 v165, 0xbe3c28d5, v59
	v_dual_add_f32 v64, v165, v64 :: v_dual_mul_f32 v165, 0xbe3c28d5, v58
	s_delay_alu instid0(VALU_DEP_1) | instskip(NEXT) | instid1(VALU_DEP_1)
	v_fma_f32 v167, 0xbf7ba420, v44, -v165
	v_add_f32_e32 v167, v167, v65
	v_mul_f32_e32 v65, 0x3ee437d1, v52
	s_delay_alu instid0(VALU_DEP_1) | instskip(SKIP_1) | instid1(VALU_DEP_1)
	v_fmamk_f32 v168, v60, 0xbf65296c, v65
	v_fmac_f32_e32 v65, 0x3f65296c, v60
	v_add_f32_e32 v65, v65, v64
	v_fma_f32 v64, 0x3ee437d1, v51, -v169
	s_delay_alu instid0(VALU_DEP_1)
	v_add_f32_e32 v64, v64, v167
	ds_store_2addr_b64 v66, v[64:65], v[62:63] offset0:18 offset1:21
	v_mul_f32_e32 v62, 0x3f6eb680, v35
	v_mul_f32_e32 v64, 0xbf59a7d5, v37
	;; [unrolled: 1-line block ×3, first 2 shown]
	v_fma_f32 v35, 0xbf7ba420, v35, -v115
	v_fmac_f32_e32 v120, 0xbf7ba420, v34
	s_delay_alu instid0(VALU_DEP_4) | instskip(SKIP_2) | instid1(VALU_DEP_4)
	v_fmamk_f32 v65, v46, 0x3f06c442, v64
	v_fmac_f32_e32 v64, 0xbf06c442, v46
	v_fma_f32 v46, 0x3f6eb680, v34, -v47
	v_dual_add_f32 v33, v35, v33 :: v_dual_add_f32 v32, v120, v32
	v_fmac_f32_e32 v122, 0xbe8c1d8e, v36
	s_delay_alu instid0(VALU_DEP_3) | instskip(SKIP_1) | instid1(VALU_DEP_2)
	v_dual_add_f32 v46, v46, v198 :: v_dual_fmamk_f32 v63, v45, 0xbeb8f4ab, v62
	v_fmac_f32_e32 v62, 0x3eb8f4ab, v45
	v_dual_add_f32 v32, v122, v32 :: v_dual_add_f32 v63, v63, v191
	s_delay_alu instid0(VALU_DEP_1) | instskip(NEXT) | instid1(VALU_DEP_2)
	v_dual_add_f32 v45, v62, v190 :: v_dual_add_f32 v32, v123, v32
	v_add_f32_e32 v63, v65, v63
	v_mul_f32_e32 v65, 0x3f3d2fb0, v39
	s_delay_alu instid0(VALU_DEP_3) | instskip(NEXT) | instid1(VALU_DEP_2)
	v_dual_mul_f32 v54, 0x3f2c7751, v54 :: v_dual_add_f32 v45, v64, v45
	v_dual_add_f32 v32, v124, v32 :: v_dual_fmamk_f32 v167, v49, 0xbf2c7751, v65
	s_delay_alu instid0(VALU_DEP_1) | instskip(NEXT) | instid1(VALU_DEP_1)
	v_dual_add_f32 v32, v125, v32 :: v_dual_add_f32 v63, v167, v63
	v_dual_mul_f32 v167, 0xbf1a4643, v41 :: v_dual_add_f32 v32, v126, v32
	s_delay_alu instid0(VALU_DEP_1) | instskip(NEXT) | instid1(VALU_DEP_2)
	v_fmamk_f32 v170, v53, 0x3f4c4adb, v167
	v_add_f32_e32 v32, v138, v32
	s_delay_alu instid0(VALU_DEP_2) | instskip(SKIP_1) | instid1(VALU_DEP_1)
	v_add_f32_e32 v63, v170, v63
	v_mul_f32_e32 v170, 0x3ee437d1, v43
	v_fmamk_f32 v171, v55, 0xbf65296c, v170
	v_fmac_f32_e32 v170, 0x3f65296c, v55
	v_fmamk_f32 v55, v51, 0xbf1a4643, v114
	s_delay_alu instid0(VALU_DEP_3) | instskip(SKIP_2) | instid1(VALU_DEP_2)
	v_add_f32_e32 v63, v171, v63
	v_mul_f32_e32 v171, 0xbe8c1d8e, v48
	v_mul_f32_e32 v58, 0xbf763a35, v58
	v_fmamk_f32 v172, v59, 0x3f763a35, v171
	v_fmac_f32_e32 v171, 0xbf763a35, v59
	s_delay_alu instid0(VALU_DEP_2) | instskip(SKIP_2) | instid1(VALU_DEP_3)
	v_dual_add_f32 v63, v172, v63 :: v_dual_fmamk_f32 v172, v34, 0x3f6eb680, v47
	v_fma_f32 v47, 0xbf59a7d5, v36, -v50
	v_fmamk_f32 v50, v36, 0x3dbcf732, v141
	v_add_f32_e32 v172, v172, v193
	s_delay_alu instid0(VALU_DEP_3) | instskip(SKIP_1) | instid1(VALU_DEP_3)
	v_add_f32_e32 v46, v47, v46
	v_fma_f32 v47, 0x3f3d2fb0, v38, -v54
	v_dual_add_f32 v172, v173, v172 :: v_dual_fmamk_f32 v173, v38, 0x3f3d2fb0, v54
	s_delay_alu instid0(VALU_DEP_2) | instskip(SKIP_1) | instid1(VALU_DEP_3)
	v_add_f32_e32 v46, v47, v46
	v_fmamk_f32 v54, v36, 0x3f3d2fb0, v73
	v_add_f32_e32 v172, v173, v172
	v_mul_f32_e32 v173, 0xbf4c4adb, v56
	s_delay_alu instid0(VALU_DEP_1) | instskip(SKIP_2) | instid1(VALU_DEP_3)
	v_fmamk_f32 v56, v40, 0xbf1a4643, v173
	v_fma_f32 v47, 0xbf1a4643, v40, -v173
	v_fmac_f32_e32 v167, 0xbf4c4adb, v53
	v_dual_fmamk_f32 v53, v51, 0xbe8c1d8e, v153 :: v_dual_add_f32 v56, v56, v172
	v_mul_f32_e32 v172, 0x3f65296c, v57
	s_delay_alu instid0(VALU_DEP_4) | instskip(SKIP_1) | instid1(VALU_DEP_3)
	v_dual_add_f32 v46, v47, v46 :: v_dual_fmac_f32 v65, 0x3f2c7751, v49
	v_fma_f32 v49, 0x3dbcf732, v51, -v61
	v_fmamk_f32 v57, v42, 0x3ee437d1, v172
	v_fma_f32 v47, 0x3ee437d1, v42, -v172
	s_delay_alu instid0(VALU_DEP_4) | instskip(NEXT) | instid1(VALU_DEP_3)
	v_add_f32_e32 v45, v65, v45
	v_dual_add_f32 v56, v57, v56 :: v_dual_fmamk_f32 v57, v44, 0xbe8c1d8e, v58
	s_delay_alu instid0(VALU_DEP_2) | instskip(NEXT) | instid1(VALU_DEP_4)
	v_add_f32_e32 v45, v167, v45
	v_add_f32_e32 v46, v47, v46
	v_fma_f32 v47, 0xbe8c1d8e, v44, -v58
	s_delay_alu instid0(VALU_DEP_4) | instskip(NEXT) | instid1(VALU_DEP_4)
	v_dual_add_f32 v56, v57, v56 :: v_dual_fmamk_f32 v57, v60, 0xbf7ee86f, v174
	v_add_f32_e32 v45, v170, v45
	s_delay_alu instid0(VALU_DEP_3) | instskip(NEXT) | instid1(VALU_DEP_3)
	v_add_f32_e32 v47, v47, v46
	v_add_f32_e32 v57, v57, v63
	v_fmamk_f32 v63, v51, 0x3dbcf732, v61
	s_delay_alu instid0(VALU_DEP_4) | instskip(NEXT) | instid1(VALU_DEP_2)
	v_dual_add_f32 v45, v171, v45 :: v_dual_fmac_f32 v174, 0x3f7ee86f, v60
	v_add_f32_e32 v56, v63, v56
	s_delay_alu instid0(VALU_DEP_2) | instskip(SKIP_4) | instid1(VALU_DEP_1)
	v_dual_add_f32 v46, v174, v45 :: v_dual_add_f32 v45, v49, v47
	v_fmamk_f32 v47, v36, 0x3f6eb680, v156
	v_fmamk_f32 v49, v51, 0x3ee437d1, v169
	ds_store_2addr_b64 v66, v[45:46], v[56:57] offset0:24 offset1:27
	v_add_f32_e32 v45, v154, v183
	v_dual_fmamk_f32 v46, v34, 0xbe8c1d8e, v155 :: v_dual_add_f32 v45, v157, v45
	s_delay_alu instid0(VALU_DEP_1) | instskip(NEXT) | instid1(VALU_DEP_1)
	v_dual_add_f32 v46, v46, v182 :: v_dual_add_f32 v45, v159, v45
	v_dual_add_f32 v46, v47, v46 :: v_dual_add_f32 v45, v162, v45
	s_delay_alu instid0(VALU_DEP_1) | instskip(NEXT) | instid1(VALU_DEP_1)
	v_add_f32_e32 v45, v164, v45
	v_add_f32_e32 v45, v166, v45
	v_fmamk_f32 v47, v38, 0xbf59a7d5, v158
	s_delay_alu instid0(VALU_DEP_1) | instskip(NEXT) | instid1(VALU_DEP_1)
	v_dual_add_f32 v46, v47, v46 :: v_dual_fmamk_f32 v47, v40, 0x3dbcf732, v160
	v_dual_add_f32 v46, v47, v46 :: v_dual_fmamk_f32 v47, v42, 0x3f3d2fb0, v163
	s_delay_alu instid0(VALU_DEP_1) | instskip(NEXT) | instid1(VALU_DEP_1)
	v_dual_add_f32 v46, v47, v46 :: v_dual_fmamk_f32 v47, v44, 0xbf7ba420, v165
	v_dual_add_f32 v47, v47, v46 :: v_dual_add_f32 v46, v168, v45
	s_delay_alu instid0(VALU_DEP_1) | instskip(SKIP_2) | instid1(VALU_DEP_2)
	v_add_f32_e32 v45, v49, v47
	v_fmamk_f32 v49, v34, 0x3ee437d1, v139
	v_add_f32_e32 v47, v136, v161
	v_add_f32_e32 v49, v49, v148
	s_delay_alu instid0(VALU_DEP_1) | instskip(SKIP_1) | instid1(VALU_DEP_1)
	v_add_f32_e32 v49, v50, v49
	v_fmamk_f32 v50, v38, 0xbf1a4643, v143
	v_dual_add_f32 v49, v50, v49 :: v_dual_fmamk_f32 v50, v40, 0x3f6eb680, v146
	s_delay_alu instid0(VALU_DEP_1) | instskip(SKIP_1) | instid1(VALU_DEP_1)
	v_add_f32_e32 v49, v50, v49
	v_fmamk_f32 v50, v42, 0xbf7ba420, v149
	v_dual_add_f32 v49, v50, v49 :: v_dual_fmamk_f32 v50, v44, 0x3f3d2fb0, v151
	s_delay_alu instid0(VALU_DEP_1) | instskip(NEXT) | instid1(VALU_DEP_1)
	v_add_f32_e32 v49, v50, v49
	v_add_f32_e32 v49, v53, v49
	v_fmamk_f32 v53, v34, 0xbf59a7d5, v71
	v_fma_f32 v34, 0xbe8c1d8e, v37, -v116
	s_delay_alu instid0(VALU_DEP_2) | instskip(NEXT) | instid1(VALU_DEP_2)
	v_add_f32_e32 v53, v53, v68
	v_add_f32_e32 v33, v34, v33
	v_fma_f32 v34, 0x3f6eb680, v39, -v117
	s_delay_alu instid0(VALU_DEP_3) | instskip(SKIP_1) | instid1(VALU_DEP_3)
	v_add_f32_e32 v53, v54, v53
	v_dual_fmamk_f32 v54, v38, 0x3ee437d1, v75 :: v_dual_add_f32 v47, v140, v47
	v_add_f32_e32 v33, v34, v33
	v_fma_f32 v34, 0x3ee437d1, v41, -v118
	s_delay_alu instid0(VALU_DEP_3) | instskip(NEXT) | instid1(VALU_DEP_4)
	v_add_f32_e32 v53, v54, v53
	v_dual_add_f32 v47, v142, v47 :: v_dual_fmamk_f32 v54, v40, 0xbf7ba420, v77
	s_delay_alu instid0(VALU_DEP_3) | instskip(SKIP_1) | instid1(VALU_DEP_3)
	v_add_f32_e32 v33, v34, v33
	v_fma_f32 v34, 0xbf59a7d5, v43, -v119
	v_add_f32_e32 v47, v145, v47
	s_delay_alu instid0(VALU_DEP_4) | instskip(SKIP_1) | instid1(VALU_DEP_4)
	v_add_f32_e32 v53, v54, v53
	v_fmamk_f32 v54, v42, 0x3dbcf732, v111
	v_add_f32_e32 v33, v34, v33
	v_fma_f32 v34, 0xbf1a4643, v48, -v121
	s_delay_alu instid0(VALU_DEP_3) | instskip(SKIP_1) | instid1(VALU_DEP_3)
	v_dual_add_f32 v53, v54, v53 :: v_dual_fmamk_f32 v54, v44, 0x3f6eb680, v112
	v_add_f32_e32 v47, v147, v47
	v_add_f32_e32 v33, v34, v33
	v_fma_f32 v34, 0x3f3d2fb0, v52, -v137
	s_delay_alu instid0(VALU_DEP_4) | instskip(NEXT) | instid1(VALU_DEP_4)
	v_add_f32_e32 v53, v54, v53
	v_add_f32_e32 v47, v150, v47
	s_delay_alu instid0(VALU_DEP_3) | instskip(NEXT) | instid1(VALU_DEP_2)
	v_add_f32_e32 v33, v34, v33
	v_dual_add_f32 v53, v55, v53 :: v_dual_add_f32 v50, v152, v47
	v_add_f32_e32 v47, v67, v144
	s_delay_alu instid0(VALU_DEP_1) | instskip(NEXT) | instid1(VALU_DEP_1)
	v_add_f32_e32 v47, v69, v47
	v_add_f32_e32 v47, v70, v47
	s_delay_alu instid0(VALU_DEP_1) | instskip(NEXT) | instid1(VALU_DEP_1)
	v_add_f32_e32 v47, v72, v47
	;; [unrolled: 3-line block ×3, first 2 shown]
	v_add_f32_e32 v54, v113, v47
	ds_store_2addr_b64 v66, v[49:50], v[45:46] offset0:30 offset1:33
	ds_store_2addr_b64 v66, v[53:54], v[32:33] offset0:36 offset1:39
	;; [unrolled: 1-line block ×3, first 2 shown]
	ds_store_b64 v66, v[105:106] offset:384
.LBB0_11:
	s_wait_alu 0xfffe
	s_or_b32 exec_lo, exec_lo, s1
	v_mad_co_u64_u32 v[75:76], null, v128, 48, s[2:3]
	global_wb scope:SCOPE_SE
	s_wait_dscnt 0x0
	s_barrier_signal -1
	s_barrier_wait -1
	global_inv scope:SCOPE_SE
	v_mul_i32_i24_e32 v111, 0xffffffd8, v128
	v_mul_hi_i32_i24_e32 v77, 0xffffffd8, v128
	s_clause 0x2
	global_load_b128 v[40:43], v[75:76], off offset:384
	global_load_b128 v[36:39], v[75:76], off offset:400
	;; [unrolled: 1-line block ×3, first 2 shown]
	ds_load_2addr_b64 v[47:50], v127 offset0:102 offset1:153
	ds_load_2addr_b64 v[51:54], v127 offset0:204 offset1:255
	v_add_nc_u32_e32 v44, 0x800, v127
	v_add_co_u32 v75, s1, v75, v111
	s_wait_alu 0xf1ff
	v_add_co_ci_u32_e64 v76, s1, v76, v77, s1
	v_add_nc_u32_e32 v46, 0xc00, v127
	s_add_nc_u64 s[2:3], s[16:17], 0x1650
	s_wait_loadcnt_dscnt 0x201
	v_mul_f32_e32 v111, v47, v41
	v_mul_f32_e32 v77, v48, v41
	ds_load_2addr_b64 v[55:58], v44 offset0:50 offset1:101
	v_add_nc_u32_e32 v45, 0x1000, v127
	ds_load_2addr_b64 v[59:62], v44 offset0:152 offset1:203
	ds_load_2addr_b64 v[63:66], v127 offset1:51
	ds_load_2addr_b64 v[67:70], v46 offset0:126 offset1:177
	s_wait_dscnt 0x4
	v_mul_f32_e32 v112, v52, v43
	v_mul_f32_e32 v113, v51, v43
	v_dual_mul_f32 v124, v54, v43 :: v_dual_fmac_f32 v111, v48, v40
	v_fma_f32 v47, v47, v40, -v77
	v_mul_f32_e32 v122, v50, v41
	v_mul_f32_e32 v123, v49, v41
	s_delay_alu instid0(VALU_DEP_2)
	v_fma_f32 v49, v49, v40, -v122
	s_wait_loadcnt_dscnt 0x103
	v_mul_f32_e32 v114, v56, v37
	ds_load_2addr_b64 v[71:74], v45 offset0:100 offset1:151
	s_wait_dscnt 0x3
	v_dual_mul_f32 v115, v55, v37 :: v_dual_mul_f32 v116, v60, v39
	s_wait_loadcnt_dscnt 0x1
	v_mul_f32_e32 v119, v67, v33
	v_dual_mul_f32 v117, v59, v39 :: v_dual_mul_f32 v118, v68, v33
	v_mul_f32_e32 v126, v58, v37
	v_dual_mul_f32 v136, v57, v37 :: v_dual_mul_f32 v137, v62, v39
	;; [unrolled: 2-line block ×3, first 2 shown]
	v_mul_f32_e32 v140, v69, v33
	v_fma_f32 v48, v51, v42, -v112
	v_fmac_f32_e32 v113, v52, v42
	v_fma_f32 v51, v55, v36, -v114
	v_dual_fmac_f32 v115, v56, v36 :: v_dual_fmac_f32 v138, v62, v38
	v_fma_f32 v52, v59, v38, -v116
	v_fma_f32 v55, v67, v32, -v118
	s_wait_dscnt 0x0
	v_mul_f32_e32 v120, v72, v35
	v_mul_f32_e32 v121, v71, v35
	;; [unrolled: 1-line block ×4, first 2 shown]
	v_dual_fmac_f32 v117, v60, v38 :: v_dual_fmac_f32 v140, v70, v32
	s_delay_alu instid0(VALU_DEP_3) | instskip(SKIP_2) | instid1(VALU_DEP_3)
	v_dual_fmac_f32 v119, v68, v32 :: v_dual_fmac_f32 v142, v74, v34
	v_fma_f32 v56, v71, v34, -v120
	v_dual_fmac_f32 v121, v72, v34 :: v_dual_fmac_f32 v136, v58, v36
	v_dual_add_f32 v62, v113, v119 :: v_dual_fmac_f32 v123, v50, v40
	v_fma_f32 v50, v53, v42, -v124
	s_delay_alu instid0(VALU_DEP_3)
	v_dual_add_f32 v60, v111, v121 :: v_dual_fmac_f32 v125, v54, v42
	v_fma_f32 v53, v57, v36, -v126
	v_fma_f32 v54, v61, v38, -v137
	;; [unrolled: 1-line block ×4, first 2 shown]
	v_add_f32_e32 v59, v47, v56
	v_dual_add_f32 v61, v48, v55 :: v_dual_add_f32 v68, v115, v117
	v_add_f32_e32 v67, v51, v52
	v_sub_f32_e32 v47, v47, v56
	v_sub_f32_e32 v56, v111, v121
	v_sub_f32_e32 v48, v48, v55
	v_dual_sub_f32 v55, v113, v119 :: v_dual_add_f32 v70, v123, v142
	v_sub_f32_e32 v51, v52, v51
	v_sub_f32_e32 v52, v117, v115
	v_add_f32_e32 v69, v49, v58
	v_sub_f32_e32 v49, v49, v58
	v_dual_sub_f32 v58, v123, v142 :: v_dual_add_f32 v71, v50, v57
	v_add_f32_e32 v72, v125, v140
	v_dual_sub_f32 v50, v50, v57 :: v_dual_sub_f32 v57, v125, v140
	v_add_f32_e32 v74, v136, v138
	v_dual_add_f32 v73, v53, v54 :: v_dual_add_f32 v114, v51, v48
	v_dual_sub_f32 v53, v54, v53 :: v_dual_sub_f32 v112, v61, v59
	v_dual_sub_f32 v54, v138, v136 :: v_dual_add_f32 v77, v61, v59
	v_dual_add_f32 v111, v62, v60 :: v_dual_sub_f32 v118, v48, v47
	v_sub_f32_e32 v113, v62, v60
	v_dual_sub_f32 v59, v59, v67 :: v_dual_sub_f32 v60, v60, v68
	v_dual_sub_f32 v61, v67, v61 :: v_dual_sub_f32 v62, v68, v62
	v_dual_add_f32 v115, v52, v55 :: v_dual_sub_f32 v116, v51, v48
	v_dual_sub_f32 v117, v52, v55 :: v_dual_sub_f32 v120, v71, v69
	v_dual_sub_f32 v51, v47, v51 :: v_dual_sub_f32 v52, v56, v52
	v_dual_sub_f32 v55, v55, v56 :: v_dual_add_f32 v122, v53, v50
	v_dual_add_f32 v48, v71, v69 :: v_dual_add_f32 v119, v72, v70
	v_dual_sub_f32 v126, v50, v49 :: v_dual_sub_f32 v121, v72, v70
	v_dual_add_f32 v56, v115, v56 :: v_dual_sub_f32 v69, v69, v73
	v_dual_sub_f32 v70, v70, v74 :: v_dual_sub_f32 v71, v73, v71
	v_sub_f32_e32 v72, v74, v72
	v_dual_add_f32 v123, v54, v57 :: v_dual_sub_f32 v124, v53, v50
	v_dual_sub_f32 v125, v54, v57 :: v_dual_add_f32 v68, v68, v111
	v_dual_sub_f32 v53, v49, v53 :: v_dual_mul_f32 v50, 0x3f4a47b2, v59
	v_sub_f32_e32 v57, v57, v58
	v_add_f32_e32 v67, v67, v77
	v_dual_mul_f32 v59, 0x3f4a47b2, v60 :: v_dual_add_f32 v74, v74, v119
	v_dual_mul_f32 v60, 0x3d64c772, v61 :: v_dual_mul_f32 v111, 0x3d64c772, v62
	v_sub_f32_e32 v54, v58, v54
	v_dual_add_f32 v77, v114, v47 :: v_dual_add_f32 v58, v123, v58
	v_dual_mul_f32 v114, 0xbf08b237, v116 :: v_dual_mul_f32 v115, 0xbf08b237, v117
	v_mul_f32_e32 v124, 0xbf08b237, v124
	v_dual_mul_f32 v116, 0x3f5ff5aa, v118 :: v_dual_mul_f32 v117, 0x3f5ff5aa, v55
	v_dual_mul_f32 v136, 0x3f5ff5aa, v126 :: v_dual_add_f32 v73, v73, v48
	v_dual_mul_f32 v70, 0x3f4a47b2, v70 :: v_dual_add_f32 v119, v122, v49
	v_dual_add_f32 v48, v64, v68 :: v_dual_mul_f32 v69, 0x3f4a47b2, v69
	v_dual_mul_f32 v122, 0x3d64c772, v71 :: v_dual_mul_f32 v123, 0x3d64c772, v72
	v_fmamk_f32 v62, v62, 0x3d64c772, v59
	v_mul_f32_e32 v125, 0xbf08b237, v125
	v_add_f32_e32 v47, v63, v67
	v_fma_f32 v63, 0x3f3bfb3b, v113, -v111
	v_mul_f32_e32 v137, 0x3f5ff5aa, v57
	v_fma_f32 v60, 0x3f3bfb3b, v112, -v60
	v_fma_f32 v64, 0xbf3bfb3b, v112, -v50
	;; [unrolled: 1-line block ×3, first 2 shown]
	v_dual_fmamk_f32 v111, v51, 0x3eae86e6, v114 :: v_dual_fmamk_f32 v112, v52, 0x3eae86e6, v115
	v_fma_f32 v113, 0x3f5ff5aa, v118, -v114
	v_fmamk_f32 v118, v54, 0x3eae86e6, v125
	v_fma_f32 v114, 0x3f5ff5aa, v55, -v115
	v_fma_f32 v115, 0xbeae86e6, v51, -v116
	;; [unrolled: 1-line block ×3, first 2 shown]
	v_dual_add_f32 v49, v65, v73 :: v_dual_fmamk_f32 v52, v72, 0x3d64c772, v70
	v_fma_f32 v55, 0x3f3bfb3b, v120, -v122
	v_fmamk_f32 v117, v53, 0x3eae86e6, v124
	v_fma_f32 v72, 0xbeae86e6, v53, -v136
	v_fmamk_f32 v53, v67, 0xbf955555, v47
	v_dual_fmamk_f32 v61, v61, 0x3d64c772, v50 :: v_dual_add_f32 v50, v66, v74
	v_fma_f32 v66, 0xbf3bfb3b, v120, -v69
	v_fma_f32 v120, 0xbeae86e6, v54, -v137
	v_fmamk_f32 v54, v68, 0xbf955555, v48
	v_fmamk_f32 v51, v71, 0x3d64c772, v69
	v_fma_f32 v69, 0xbf3bfb3b, v121, -v70
	v_fma_f32 v70, 0x3f5ff5aa, v126, -v124
	v_dual_fmac_f32 v111, 0x3ee1c552, v77 :: v_dual_fmac_f32 v112, 0x3ee1c552, v56
	v_dual_fmac_f32 v113, 0x3ee1c552, v77 :: v_dual_fmac_f32 v114, 0x3ee1c552, v56
	;; [unrolled: 1-line block ×3, first 2 shown]
	v_fmamk_f32 v56, v73, 0xbf955555, v49
	v_add_f32_e32 v62, v62, v54
	v_fma_f32 v71, 0x3f5ff5aa, v57, -v125
	v_fmamk_f32 v57, v74, 0xbf955555, v50
	v_fma_f32 v65, 0x3f3bfb3b, v121, -v123
	v_fmac_f32_e32 v118, 0x3ee1c552, v58
	s_delay_alu instid0(VALU_DEP_4) | instskip(NEXT) | instid1(VALU_DEP_4)
	v_dual_fmac_f32 v70, 0x3ee1c552, v119 :: v_dual_fmac_f32 v71, 0x3ee1c552, v58
	v_add_f32_e32 v74, v52, v57
	v_dual_fmac_f32 v120, 0x3ee1c552, v58 :: v_dual_add_f32 v73, v51, v56
	v_add_f32_e32 v58, v60, v53
	v_dual_add_f32 v61, v61, v53 :: v_dual_fmac_f32 v72, 0x3ee1c552, v119
	v_dual_add_f32 v60, v63, v54 :: v_dual_add_f32 v63, v64, v53
	v_dual_add_f32 v64, v59, v54 :: v_dual_fmac_f32 v117, 0x3ee1c552, v119
	v_dual_add_f32 v122, v69, v57 :: v_dual_add_f32 v121, v66, v56
	v_dual_add_f32 v77, v55, v56 :: v_dual_sub_f32 v52, v62, v111
	s_delay_alu instid0(VALU_DEP_3)
	v_dual_add_f32 v119, v65, v57 :: v_dual_sub_f32 v54, v64, v115
	v_dual_add_f32 v51, v112, v61 :: v_dual_add_f32 v56, v113, v60
	v_add_f32_e32 v53, v116, v63
	v_sub_f32_e32 v55, v58, v114
	v_dual_add_f32 v57, v114, v58 :: v_dual_sub_f32 v58, v60, v113
	v_sub_f32_e32 v59, v63, v116
	v_add_f32_e32 v60, v115, v64
	v_dual_sub_f32 v64, v74, v117 :: v_dual_sub_f32 v61, v61, v112
	v_dual_add_f32 v62, v111, v62 :: v_dual_add_f32 v63, v118, v73
	v_dual_add_f32 v65, v120, v121 :: v_dual_sub_f32 v66, v122, v72
	global_wb scope:SCOPE_SE
	s_barrier_signal -1
	s_barrier_wait -1
	global_inv scope:SCOPE_SE
	v_dual_sub_f32 v67, v77, v71 :: v_dual_add_f32 v72, v72, v122
	v_dual_add_f32 v68, v70, v119 :: v_dual_add_f32 v69, v71, v77
	v_dual_sub_f32 v70, v119, v70 :: v_dual_sub_f32 v71, v121, v120
	v_sub_f32_e32 v73, v73, v118
	v_add_f32_e32 v74, v117, v74
	ds_store_2addr_b64 v127, v[47:48], v[51:52] offset1:51
	ds_store_2addr_b64 v127, v[53:54], v[55:56] offset0:102 offset1:153
	ds_store_2addr_b64 v127, v[57:58], v[59:60] offset0:204 offset1:255
	;; [unrolled: 1-line block ×6, first 2 shown]
	global_wb scope:SCOPE_SE
	s_wait_dscnt 0x0
	s_barrier_signal -1
	s_barrier_wait -1
	global_inv scope:SCOPE_SE
	s_clause 0x6
	global_load_b64 v[123:124], v[75:76], off offset:2832
	global_load_b64 v[115:116], v[75:76], off offset:3240
	;; [unrolled: 1-line block ×7, first 2 shown]
	ds_load_2addr_b64 v[48:51], v44 offset0:50 offset1:101
	ds_load_2addr_b64 v[52:55], v44 offset0:152 offset1:203
	;; [unrolled: 1-line block ×4, first 2 shown]
	ds_load_2addr_b64 v[64:67], v127 offset1:51
	ds_load_2addr_b64 v[68:71], v127 offset0:102 offset1:153
	ds_load_2addr_b64 v[72:75], v127 offset0:204 offset1:255
	s_wait_loadcnt_dscnt 0x606
	v_mul_f32_e32 v47, v51, v124
	v_mul_f32_e32 v76, v50, v124
	s_wait_loadcnt_dscnt 0x405
	v_dual_mul_f32 v77, v53, v116 :: v_dual_mul_f32 v136, v54, v118
	s_wait_loadcnt_dscnt 0x204
	v_dual_mul_f32 v125, v52, v116 :: v_dual_mul_f32 v140, v58, v114
	v_mul_f32_e32 v126, v55, v118
	s_wait_loadcnt_dscnt 0x3
	v_dual_mul_f32 v137, v57, v122 :: v_dual_mul_f32 v144, v62, v112
	v_dual_mul_f32 v138, v56, v122 :: v_dual_mul_f32 v141, v61, v120
	;; [unrolled: 1-line block ×3, first 2 shown]
	v_mul_f32_e32 v143, v63, v112
	v_fma_f32 v47, v50, v123, -v47
	v_fmac_f32_e32 v76, v51, v123
	v_fma_f32 v50, v52, v115, -v77
	v_fmac_f32_e32 v142, v61, v119
	v_dual_fmac_f32 v125, v53, v115 :: v_dual_fmac_f32 v136, v55, v117
	v_fma_f32 v51, v54, v117, -v126
	v_fma_f32 v77, v56, v121, -v137
	v_fmac_f32_e32 v138, v57, v121
	v_fma_f32 v126, v58, v113, -v139
	s_wait_dscnt 0x2
	v_dual_fmac_f32 v140, v59, v113 :: v_dual_sub_f32 v53, v65, v76
	v_fma_f32 v137, v60, v119, -v141
	v_fma_f32 v139, v62, v111, -v143
	s_wait_dscnt 0x1
	v_dual_fmac_f32 v144, v63, v111 :: v_dual_sub_f32 v57, v69, v136
	v_dual_sub_f32 v52, v64, v47 :: v_dual_sub_f32 v55, v67, v125
	s_wait_dscnt 0x0
	v_dual_sub_f32 v54, v66, v50 :: v_dual_sub_f32 v61, v73, v140
	v_dual_sub_f32 v56, v68, v51 :: v_dual_sub_f32 v59, v71, v138
	;; [unrolled: 1-line block ×4, first 2 shown]
	v_sub_f32_e32 v62, v74, v137
	v_sub_f32_e32 v50, v48, v139
	v_fma_f32 v64, v64, 2.0, -v52
	v_fma_f32 v65, v65, 2.0, -v53
	;; [unrolled: 1-line block ×14, first 2 shown]
	ds_store_b64 v127, v[52:53] offset:2856
	ds_store_2addr_b64 v127, v[64:65], v[66:67] offset1:51
	ds_store_2addr_b64 v44, v[54:55], v[56:57] offset0:152 offset1:203
	ds_store_2addr_b64 v127, v[68:69], v[70:71] offset0:102 offset1:153
	;; [unrolled: 1-line block ×4, first 2 shown]
	ds_store_b64 v127, v[48:49] offset:2448
	ds_store_2addr_b64 v45, v[62:63], v[50:51] offset0:100 offset1:151
	global_wb scope:SCOPE_SE
	s_wait_dscnt 0x0
	s_barrier_signal -1
	s_barrier_wait -1
	global_inv scope:SCOPE_SE
	s_clause 0xb
	global_load_b64 v[56:57], v[78:79], off offset:5712
	global_load_b64 v[76:77], v127, s[2:3] offset:408
	global_load_b64 v[125:126], v127, s[2:3] offset:1904
	global_load_b64 v[136:137], v127, s[2:3] offset:3808
	global_load_b64 v[138:139], v127, s[2:3] offset:2312
	global_load_b64 v[140:141], v127, s[2:3] offset:4216
	global_load_b64 v[142:143], v127, s[2:3] offset:816
	global_load_b64 v[144:145], v127, s[2:3] offset:2720
	global_load_b64 v[146:147], v127, s[2:3] offset:4624
	global_load_b64 v[148:149], v127, s[2:3] offset:1224
	global_load_b64 v[150:151], v127, s[2:3] offset:3128
	global_load_b64 v[152:153], v127, s[2:3] offset:5032
	ds_load_2addr_b64 v[52:55], v127 offset1:51
	s_wait_loadcnt_dscnt 0xb00
	v_mul_f32_e32 v47, v53, v57
	v_mul_f32_e32 v58, v52, v57
	s_delay_alu instid0(VALU_DEP_2) | instskip(SKIP_1) | instid1(VALU_DEP_2)
	v_fma_f32 v57, v52, v56, -v47
	s_wait_loadcnt 0xa
	v_dual_fmac_f32 v58, v53, v56 :: v_dual_mul_f32 v53, v54, v77
	v_add_nc_u32_e32 v47, 0x400, v127
	ds_store_b64 v127, v[57:58]
	ds_load_2addr_b64 v[56:59], v47 offset0:110 offset1:161
	ds_load_2addr_b64 v[60:63], v46 offset0:92 offset1:143
	;; [unrolled: 1-line block ×5, first 2 shown]
	v_mul_f32_e32 v52, v55, v77
	v_fmac_f32_e32 v53, v55, v76
	s_wait_loadcnt_dscnt 0x904
	v_mul_f32_e32 v55, v56, v126
	s_delay_alu instid0(VALU_DEP_3)
	v_fma_f32 v52, v54, v76, -v52
	s_wait_loadcnt_dscnt 0x803
	v_dual_mul_f32 v54, v57, v126 :: v_dual_mul_f32 v77, v60, v137
	v_mul_f32_e32 v76, v61, v137
	s_wait_loadcnt 0x6
	v_dual_mul_f32 v154, v59, v139 :: v_dual_mul_f32 v137, v62, v141
	v_dual_mul_f32 v126, v58, v139 :: v_dual_mul_f32 v155, v63, v141
	s_wait_loadcnt_dscnt 0x401
	v_dual_mul_f32 v156, v65, v143 :: v_dual_mul_f32 v141, v68, v145
	v_mul_f32_e32 v139, v64, v143
	s_wait_loadcnt 0x1
	v_dual_mul_f32 v157, v69, v145 :: v_dual_mul_f32 v160, v71, v151
	s_wait_dscnt 0x0
	v_dual_mul_f32 v158, v73, v147 :: v_dual_mul_f32 v159, v67, v149
	v_dual_mul_f32 v143, v72, v147 :: v_dual_fmac_f32 v126, v59, v138
	v_mul_f32_e32 v145, v66, v149
	v_mul_f32_e32 v147, v70, v151
	s_wait_loadcnt 0x0
	v_mul_f32_e32 v151, v75, v153
	v_mul_f32_e32 v149, v74, v153
	v_fma_f32 v54, v56, v125, -v54
	v_fmac_f32_e32 v55, v57, v125
	v_fma_f32 v125, v58, v138, -v154
	v_fma_f32 v138, v64, v142, -v156
	v_fmac_f32_e32 v139, v65, v142
	v_fma_f32 v76, v60, v136, -v76
	v_fmac_f32_e32 v77, v61, v136
	;; [unrolled: 2-line block ×8, first 2 shown]
	ds_store_2addr_b64 v127, v[52:53], v[138:139] offset0:51 offset1:102
	ds_store_2addr_b64 v44, v[125:126], v[140:141] offset0:33 offset1:84
	;; [unrolled: 1-line block ×5, first 2 shown]
	ds_store_b64 v127, v[148:149] offset:5032
	s_and_saveexec_b32 s1, vcc_lo
	s_cbranch_execz .LBB0_13
; %bb.12:
	s_wait_alu 0xfffe
	v_add_co_u32 v52, s2, s2, v127
	s_wait_alu 0xf1ff
	v_add_co_ci_u32_e64 v53, null, s3, 0, s2
	s_clause 0x2
	global_load_b64 v[56:57], v[52:53], off offset:1632
	global_load_b64 v[58:59], v[52:53], off offset:3536
	;; [unrolled: 1-line block ×3, first 2 shown]
	v_add_nc_u32_e32 v66, 0x600, v127
	ds_load_2addr_b64 v[52:55], v66 offset0:12 offset1:250
	ds_load_b64 v[62:63], v127 offset:5440
	s_wait_loadcnt_dscnt 0x201
	v_mul_f32_e32 v65, v52, v57
	s_wait_loadcnt 0x1
	v_dual_mul_f32 v64, v53, v57 :: v_dual_mul_f32 v67, v55, v59
	s_wait_loadcnt_dscnt 0x0
	v_dual_mul_f32 v57, v54, v59 :: v_dual_mul_f32 v68, v63, v61
	v_mul_f32_e32 v59, v62, v61
	s_delay_alu instid0(VALU_DEP_3)
	v_fma_f32 v64, v52, v56, -v64
	v_fmac_f32_e32 v65, v53, v56
	v_fma_f32 v56, v54, v58, -v67
	v_fmac_f32_e32 v57, v55, v58
	;; [unrolled: 2-line block ×3, first 2 shown]
	ds_store_2addr_b64 v66, v[64:65], v[56:57] offset0:12 offset1:250
	ds_store_b64 v127, v[58:59] offset:5440
.LBB0_13:
	s_wait_alu 0xfffe
	s_or_b32 exec_lo, exec_lo, s1
	global_wb scope:SCOPE_SE
	s_wait_dscnt 0x0
	s_barrier_signal -1
	s_barrier_wait -1
	global_inv scope:SCOPE_SE
	ds_load_2addr_b64 v[56:59], v127 offset1:51
	ds_load_2addr_b64 v[60:63], v47 offset0:110 offset1:161
	ds_load_2addr_b64 v[64:67], v46 offset0:92 offset1:143
	;; [unrolled: 1-line block ×5, first 2 shown]
	s_and_saveexec_b32 s1, vcc_lo
	s_cbranch_execz .LBB0_15
; %bb.14:
	v_add_nc_u32_e32 v44, 0x600, v127
	ds_load_2addr_b64 v[48:51], v44 offset0:12 offset1:250
	ds_load_b64 v[109:110], v127 offset:5440
.LBB0_15:
	s_wait_alu 0xfffe
	s_or_b32 exec_lo, exec_lo, s1
	s_wait_dscnt 0x3
	v_dual_add_f32 v44, v60, v64 :: v_dual_sub_f32 v47, v61, v65
	v_dual_add_f32 v45, v56, v60 :: v_dual_add_f32 v46, v61, v65
	v_sub_f32_e32 v60, v60, v64
	s_delay_alu instid0(VALU_DEP_3)
	v_fma_f32 v68, -0.5, v44, v56
	global_wb scope:SCOPE_SE
	s_wait_dscnt 0x0
	s_barrier_signal -1
	v_fma_f32 v69, -0.5, v46, v57
	v_dual_add_f32 v56, v57, v61 :: v_dual_add_f32 v57, v58, v62
	v_fmamk_f32 v46, v47, 0xbf5db3d7, v68
	s_delay_alu instid0(VALU_DEP_3) | instskip(NEXT) | instid1(VALU_DEP_3)
	v_dual_fmac_f32 v68, 0x3f5db3d7, v47 :: v_dual_fmamk_f32 v47, v60, 0x3f5db3d7, v69
	v_dual_add_f32 v44, v45, v64 :: v_dual_add_f32 v45, v56, v65
	v_dual_add_f32 v56, v62, v66 :: v_dual_sub_f32 v61, v63, v67
	v_dual_fmac_f32 v69, 0xbf5db3d7, v60 :: v_dual_add_f32 v60, v63, v67
	v_add_f32_e32 v125, v57, v66
	s_delay_alu instid0(VALU_DEP_3)
	v_fma_f32 v58, -0.5, v56, v58
	v_add_f32_e32 v57, v59, v63
	v_add_f32_e32 v63, v71, v75
	s_barrier_wait -1
	global_inv scope:SCOPE_SE
	v_fmamk_f32 v56, v61, 0xbf5db3d7, v58
	v_dual_fmac_f32 v58, 0x3f5db3d7, v61 :: v_dual_add_f32 v61, v70, v74
	v_dual_fmac_f32 v59, -0.5, v60 :: v_dual_sub_f32 v60, v62, v66
	v_add_f32_e32 v126, v57, v67
	v_add_f32_e32 v62, v52, v70
	s_delay_alu instid0(VALU_DEP_3)
	v_fmamk_f32 v57, v60, 0x3f5db3d7, v59
	v_fmac_f32_e32 v59, 0xbf5db3d7, v60
	v_fma_f32 v60, -0.5, v61, v52
	v_sub_f32_e32 v52, v71, v75
	v_fma_f32 v61, -0.5, v63, v53
	v_add_f32_e32 v64, v62, v74
	v_dual_add_f32 v62, v53, v71 :: v_dual_sub_f32 v53, v70, v74
	v_dual_sub_f32 v63, v73, v77 :: v_dual_sub_f32 v70, v72, v76
	s_delay_alu instid0(VALU_DEP_2) | instskip(SKIP_1) | instid1(VALU_DEP_4)
	v_fmamk_f32 v67, v53, 0x3f5db3d7, v61
	v_dual_fmac_f32 v61, 0xbf5db3d7, v53 :: v_dual_fmamk_f32 v66, v52, 0xbf5db3d7, v60
	v_dual_add_f32 v65, v62, v75 :: v_dual_fmac_f32 v60, 0x3f5db3d7, v52
	v_dual_add_f32 v53, v73, v77 :: v_dual_add_f32 v52, v72, v76
	v_add_f32_e32 v62, v54, v72
	s_delay_alu instid0(VALU_DEP_2) | instskip(NEXT) | instid1(VALU_DEP_2)
	v_fma_f32 v54, -0.5, v52, v54
	v_add_f32_e32 v52, v62, v76
	v_add_f32_e32 v62, v55, v73
	s_delay_alu instid0(VALU_DEP_3) | instskip(SKIP_1) | instid1(VALU_DEP_3)
	v_dual_fmac_f32 v55, -0.5, v53 :: v_dual_fmamk_f32 v76, v63, 0xbf5db3d7, v54
	v_dual_fmac_f32 v54, 0x3f5db3d7, v63 :: v_dual_add_f32 v63, v51, v110
	v_add_f32_e32 v53, v62, v77
	v_add_f32_e32 v62, v50, v109
	s_delay_alu instid0(VALU_DEP_4) | instskip(SKIP_2) | instid1(VALU_DEP_4)
	v_fmamk_f32 v77, v70, 0x3f5db3d7, v55
	v_dual_fmac_f32 v55, 0xbf5db3d7, v70 :: v_dual_add_f32 v70, v50, v48
	v_sub_f32_e32 v50, v50, v109
	v_fmac_f32_e32 v48, -0.5, v62
	v_sub_f32_e32 v62, v51, v110
	v_add_f32_e32 v51, v51, v49
	v_dual_fmac_f32 v49, -0.5, v63 :: v_dual_add_f32 v72, v109, v70
	ds_store_2addr_b64 v131, v[44:45], v[46:47] offset1:1
	ds_store_b64 v131, v[68:69] offset:16
	ds_store_2addr_b64 v135, v[125:126], v[56:57] offset1:1
	ds_store_b64 v135, v[58:59] offset:16
	;; [unrolled: 2-line block ×4, first 2 shown]
	v_add_f32_e32 v73, v110, v51
	v_fmamk_f32 v75, v50, 0x3f5db3d7, v49
	v_fmamk_f32 v74, v62, 0xbf5db3d7, v48
	v_fmac_f32_e32 v48, 0x3f5db3d7, v62
	v_fmac_f32_e32 v49, 0xbf5db3d7, v50
	s_and_saveexec_b32 s1, vcc_lo
	s_cbranch_execz .LBB0_17
; %bb.16:
	v_lshlrev_b32_e32 v50, 3, v133
	ds_store_2addr_b64 v50, v[72:73], v[74:75] offset1:1
	ds_store_b64 v50, v[48:49] offset:16
.LBB0_17:
	s_wait_alu 0xfffe
	s_or_b32 exec_lo, exec_lo, s1
	global_wb scope:SCOPE_SE
	s_wait_dscnt 0x0
	s_barrier_signal -1
	s_barrier_wait -1
	global_inv scope:SCOPE_SE
	s_and_saveexec_b32 s1, s0
	s_cbranch_execz .LBB0_19
; %bb.18:
	v_add_nc_u32_e32 v44, 0x1000, v127
	v_add_nc_u32_e32 v45, 0x800, v127
	ds_load_2addr_b64 v[56:59], v127 offset0:168 offset1:210
	ds_load_2addr_b64 v[68:71], v127 offset0:84 offset1:126
	;; [unrolled: 1-line block ×5, first 2 shown]
	v_add_nc_u32_e32 v64, 0x400, v127
	s_wait_dscnt 0x3
	v_dual_mov_b32 v125, v70 :: v_dual_add_nc_u32 v72, 0xc00, v127
	s_wait_dscnt 0x2
	v_mov_b32_e32 v107, v50
	s_wait_dscnt 0x1
	v_mov_b32_e32 v77, v53
	ds_load_2addr_b64 v[44:47], v127 offset1:42
	ds_load_b64 v[105:106], v127 offset:5376
	ds_load_2addr_b64 v[64:67], v64 offset0:124 offset1:166
	ds_load_2addr_b64 v[72:75], v72 offset0:120 offset1:162
	v_mov_b32_e32 v108, v51
	s_wait_dscnt 0x4
	v_dual_mov_b32 v76, v52 :: v_dual_mov_b32 v53, v63
	v_mov_b32_e32 v52, v62
	v_mov_b32_e32 v126, v71
.LBB0_19:
	s_wait_alu 0xfffe
	s_or_b32 exec_lo, exec_lo, s1
	global_wb scope:SCOPE_SE
	s_wait_dscnt 0x0
	s_barrier_signal -1
	s_barrier_wait -1
	global_inv scope:SCOPE_SE
	s_and_saveexec_b32 s1, s0
	s_cbranch_execz .LBB0_21
; %bb.20:
	v_dual_mul_f32 v70, v21, v47 :: v_dual_mul_f32 v51, v31, v105
	v_dual_mul_f32 v50, v31, v106 :: v_dual_mul_f32 v31, v29, v108
	v_mul_f32_e32 v21, v21, v46
	s_delay_alu instid0(VALU_DEP_3) | instskip(NEXT) | instid1(VALU_DEP_3)
	v_dual_fmac_f32 v70, v20, v46 :: v_dual_mul_f32 v71, v23, v69
	v_fmac_f32_e32 v50, v30, v105
	v_fma_f32 v30, v30, v106, -v51
	s_delay_alu instid0(VALU_DEP_4) | instskip(SKIP_3) | instid1(VALU_DEP_4)
	v_fma_f32 v106, v20, v47, -v21
	v_mul_f32_e32 v105, v13, v126
	v_mul_f32_e32 v51, v27, v49
	;; [unrolled: 1-line block ×3, first 2 shown]
	v_dual_mul_f32 v63, v25, v75 :: v_dual_add_f32 v110, v30, v106
	v_mul_f32_e32 v23, v23, v68
	v_fmac_f32_e32 v105, v12, v125
	v_fmac_f32_e32 v51, v26, v48
	s_delay_alu instid0(VALU_DEP_4)
	v_fmac_f32_e32 v63, v24, v74
	v_mul_f32_e32 v25, v25, v74
	v_fma_f32 v109, v22, v69, -v23
	v_dual_mul_f32 v74, v9, v59 :: v_dual_fmac_f32 v71, v22, v68
	v_sub_f32_e32 v22, v105, v51
	v_fmac_f32_e32 v31, v28, v107
	v_mul_f32_e32 v107, v15, v57
	s_delay_alu instid0(VALU_DEP_4) | instskip(SKIP_2) | instid1(VALU_DEP_4)
	v_dual_mul_f32 v23, v27, v48 :: v_dual_fmac_f32 v74, v8, v58
	v_mul_f32_e32 v15, v15, v56
	v_mul_f32_e32 v9, v9, v58
	v_dual_fmac_f32 v107, v14, v56 :: v_dual_mul_f32 v58, v17, v55
	v_mul_f32_e32 v56, v19, v73
	v_mul_f32_e32 v27, v13, v125
	v_fma_f32 v62, v28, v108, -v29
	v_fma_f32 v68, v26, v49, -v23
	;; [unrolled: 1-line block ×3, first 2 shown]
	v_fmac_f32_e32 v56, v18, v72
	v_fma_f32 v108, v12, v126, -v27
	v_fma_f32 v75, v14, v57, -v15
	v_fmac_f32_e32 v58, v16, v54
	v_dual_mul_f32 v15, v17, v54 :: v_dual_mul_f32 v54, v7, v77
	s_delay_alu instid0(VALU_DEP_4)
	v_dual_sub_f32 v134, v108, v68 :: v_dual_add_f32 v125, v62, v109
	v_mul_f32_e32 v14, v19, v72
	v_mul_f32_e32 v12, 0x3f2c7751, v22
	v_dual_sub_f32 v21, v70, v50 :: v_dual_sub_f32 v20, v71, v31
	v_fmac_f32_e32 v54, v6, v76
	v_fma_f32 v72, v8, v59, -v9
	v_mul_f32_e32 v59, v11, v65
	s_delay_alu instid0(VALU_DEP_4) | instskip(SKIP_1) | instid1(VALU_DEP_3)
	v_dual_mul_f32 v141, 0xbf763a35, v21 :: v_dual_add_f32 v126, v68, v108
	v_fma_f32 v57, v18, v73, -v14
	v_dual_add_f32 v28, v51, v105 :: v_dual_fmac_f32 v59, v10, v64
	s_delay_alu instid0(VALU_DEP_3) | instskip(NEXT) | instid1(VALU_DEP_3)
	v_fmamk_f32 v46, v110, 0xbe8c1d8e, v141
	v_dual_fmamk_f32 v27, v126, 0x3f3d2fb0, v12 :: v_dual_add_f32 v132, v57, v72
	v_mul_f32_e32 v13, 0x3f06c442, v20
	s_delay_alu instid0(VALU_DEP_4) | instskip(SKIP_2) | instid1(VALU_DEP_4)
	v_dual_add_f32 v131, v69, v75 :: v_dual_sub_f32 v18, v59, v58
	v_sub_f32_e32 v19, v74, v56
	v_fma_f32 v55, v16, v55, -v15
	v_dual_fmamk_f32 v26, v125, 0xbf59a7d5, v13 :: v_dual_mul_f32 v11, v11, v64
	v_sub_f32_e32 v136, v106, v30
	v_mul_f32_e32 v16, 0x3f7ee86f, v18
	v_dual_add_f32 v23, v45, v46 :: v_dual_mul_f32 v14, 0xbe3c28d5, v19
	v_dual_mul_f32 v64, v1, v67 :: v_dual_mul_f32 v7, v7, v76
	s_delay_alu instid0(VALU_DEP_2) | instskip(NEXT) | instid1(VALU_DEP_2)
	v_dual_sub_f32 v135, v75, v69 :: v_dual_add_f32 v26, v26, v23
	v_dual_sub_f32 v23, v107, v63 :: v_dual_fmac_f32 v64, v0, v66
	s_delay_alu instid0(VALU_DEP_2) | instskip(NEXT) | instid1(VALU_DEP_3)
	v_dual_mul_f32 v1, v1, v66 :: v_dual_mul_f32 v144, 0xbf65296c, v135
	v_add_f32_e32 v8, v27, v26
	s_delay_alu instid0(VALU_DEP_3) | instskip(SKIP_3) | instid1(VALU_DEP_4)
	v_mul_f32_e32 v142, 0xbf65296c, v23
	v_fma_f32 v73, v10, v65, -v11
	v_sub_f32_e32 v24, v64, v54
	v_fma_f32 v66, v0, v67, -v1
	v_dual_add_f32 v26, v50, v70 :: v_dual_fmamk_f32 v9, v131, 0x3ee437d1, v142
	v_fma_f32 v65, v6, v77, -v7
	s_delay_alu instid0(VALU_DEP_4) | instskip(SKIP_1) | instid1(VALU_DEP_4)
	v_dual_mul_f32 v15, 0xbeb8f4ab, v24 :: v_dual_add_f32 v48, v58, v59
	v_add_f32_e32 v46, v56, v74
	v_dual_add_f32 v8, v9, v8 :: v_dual_fmamk_f32 v9, v132, 0xbf7ba420, v14
	s_delay_alu instid0(VALU_DEP_4) | instskip(SKIP_2) | instid1(VALU_DEP_4)
	v_dual_add_f32 v76, v65, v66 :: v_dual_mul_f32 v77, v3, v61
	v_mul_f32_e32 v3, v3, v60
	v_mul_f32_e32 v147, 0xbf763a35, v136
	v_dual_add_f32 v0, v9, v8 :: v_dual_add_f32 v139, v55, v73
	s_delay_alu instid0(VALU_DEP_4) | instskip(NEXT) | instid1(VALU_DEP_4)
	v_fmac_f32_e32 v77, v2, v60
	v_fma_f32 v60, v2, v61, -v3
	v_mul_f32_e32 v67, v5, v53
	v_mul_f32_e32 v5, v5, v52
	v_fmamk_f32 v1, v139, 0x3dbcf732, v16
	v_dual_add_f32 v27, v31, v71 :: v_dual_mul_f32 v10, 0xbf4c4adb, v21
	s_delay_alu instid0(VALU_DEP_4) | instskip(NEXT) | instid1(VALU_DEP_4)
	v_fmac_f32_e32 v67, v4, v52
	v_fma_f32 v52, v4, v53, -v5
	s_delay_alu instid0(VALU_DEP_4) | instskip(SKIP_2) | instid1(VALU_DEP_4)
	v_dual_add_f32 v0, v1, v0 :: v_dual_fmamk_f32 v1, v76, 0x3f6eb680, v15
	v_sub_f32_e32 v53, v72, v57
	v_sub_f32_e32 v133, v109, v62
	v_dual_mul_f32 v143, 0x3f2c7751, v134 :: v_dual_sub_f32 v140, v60, v52
	s_delay_alu instid0(VALU_DEP_4)
	v_add_f32_e32 v0, v1, v0
	v_fma_f32 v1, 0xbe8c1d8e, v26, -v147
	v_mul_f32_e32 v146, 0xbe3c28d5, v53
	v_mul_f32_e32 v17, 0x3f06c442, v133
	;; [unrolled: 1-line block ×3, first 2 shown]
	v_dual_add_f32 v29, v63, v107 :: v_dual_mul_f32 v154, 0xbf2c7751, v18
	v_add_f32_e32 v1, v44, v1
	s_delay_alu instid0(VALU_DEP_4) | instskip(SKIP_1) | instid1(VALU_DEP_4)
	v_fma_f32 v6, 0xbf59a7d5, v27, -v17
	v_mul_f32_e32 v152, 0x3f7ee86f, v19
	v_fma_f32 v4, 0x3ee437d1, v29, -v144
	v_fma_f32 v2, 0xbf7ba420, v46, -v146
	v_sub_f32_e32 v61, v73, v55
	v_add_f32_e32 v1, v6, v1
	v_fma_f32 v6, 0x3f3d2fb0, v28, -v143
	v_mul_f32_e32 v158, 0xbeb8f4ab, v134
	v_mul_f32_e32 v150, 0xbeb8f4ab, v22
	;; [unrolled: 1-line block ×3, first 2 shown]
	v_sub_f32_e32 v137, v66, v65
	v_add_f32_e32 v1, v6, v1
	v_mul_f32_e32 v153, 0xbf4c4adb, v136
	v_add_f32_e32 v138, v52, v60
	v_fma_f32 v3, 0x3dbcf732, v48, -v148
	v_dual_add_f32 v47, v54, v64 :: v_dual_mul_f32 v8, 0xbf06c442, v21
	v_dual_add_f32 v1, v4, v1 :: v_dual_fmamk_f32 v4, v125, 0xbe8c1d8e, v11
	v_mul_f32_e32 v149, 0xbeb8f4ab, v137
	v_mul_f32_e32 v151, 0xbf06c442, v23
	v_dual_mul_f32 v9, 0x3f65296c, v20 :: v_dual_mul_f32 v170, 0x3f65296c, v133
	s_delay_alu instid0(VALU_DEP_4) | instskip(SKIP_3) | instid1(VALU_DEP_3)
	v_add_f32_e32 v1, v2, v1
	v_dual_fmamk_f32 v2, v110, 0xbf1a4643, v10 :: v_dual_sub_f32 v25, v77, v67
	v_fma_f32 v6, 0x3f6eb680, v47, -v149
	v_mul_f32_e32 v156, 0x3f763a35, v133
	v_dual_add_f32 v3, v3, v1 :: v_dual_add_f32 v2, v45, v2
	v_mul_f32_e32 v157, 0xbe3c28d5, v24
	v_fma_f32 v10, 0xbf1a4643, v110, -v10
	v_mul_f32_e32 v185, 0xbf4c4adb, v19
	v_mul_f32_e32 v163, 0xbf7ee86f, v22
	v_add_f32_e32 v2, v4, v2
	v_fmamk_f32 v4, v126, 0x3f6eb680, v150
	v_dual_mul_f32 v159, 0xbf06c442, v135 :: v_dual_add_f32 v10, v45, v10
	v_mul_f32_e32 v187, 0x3eb8f4ab, v133
	s_delay_alu instid0(VALU_DEP_3) | instskip(SKIP_2) | instid1(VALU_DEP_4)
	v_dual_add_f32 v49, v67, v77 :: v_dual_add_f32 v2, v4, v2
	v_fma_f32 v4, 0xbf1a4643, v26, -v153
	v_mul_f32_e32 v145, 0xbf4c4adb, v25
	v_fma_f32 v189, 0x3f6eb680, v27, -v187
	v_mul_f32_e32 v165, 0x3f4c4adb, v23
	v_dual_mul_f32 v171, 0x3f2c7751, v24 :: v_dual_mul_f32 v182, 0x3f2c7751, v23
	s_delay_alu instid0(VALU_DEP_4)
	v_dual_add_f32 v4, v44, v4 :: v_dual_fmamk_f32 v5, v138, 0xbf1a4643, v145
	v_mul_f32_e32 v192, 0x3f2c7751, v135
	v_mul_f32_e32 v169, 0x3f65296c, v140
	v_fma_f32 v150, 0x3f6eb680, v126, -v150
	v_fmac_f32_e32 v147, 0xbe8c1d8e, v26
	v_dual_add_f32 v1, v5, v0 :: v_dual_add_f32 v0, v6, v3
	v_fmamk_f32 v3, v131, 0xbf59a7d5, v151
	v_fma_f32 v5, 0xbe8c1d8e, v27, -v156
	v_mul_f32_e32 v168, 0xbe3c28d5, v18
	v_fma_f32 v141, 0xbe8c1d8e, v110, -v141
	v_mul_f32_e32 v172, 0xbf7ee86f, v134
	v_dual_add_f32 v2, v3, v2 :: v_dual_fmamk_f32 v3, v132, 0x3dbcf732, v152
	v_add_f32_e32 v4, v5, v4
	v_fma_f32 v5, 0x3f6eb680, v28, -v158
	v_mul_f32_e32 v160, 0x3f7ee86f, v53
	v_mul_f32_e32 v176, 0xbf763a35, v25
	v_add_f32_e32 v2, v3, v2
	v_fmamk_f32 v3, v139, 0x3f3d2fb0, v154
	v_fma_f32 v152, 0x3dbcf732, v132, -v152
	v_add_f32_e32 v141, v45, v141
	v_fma_f32 v13, 0xbf59a7d5, v125, -v13
	v_fma_f32 v12, 0x3f3d2fb0, v126, -v12
	v_dual_add_f32 v2, v3, v2 :: v_dual_fmamk_f32 v3, v76, 0xbf7ba420, v157
	v_mul_f32_e32 v162, 0xbf2c7751, v61
	v_fma_f32 v142, 0x3ee437d1, v131, -v142
	v_fma_f32 v14, 0xbf7ba420, v132, -v14
	;; [unrolled: 1-line block ×3, first 2 shown]
	v_dual_add_f32 v2, v3, v2 :: v_dual_add_f32 v3, v5, v4
	v_fma_f32 v4, 0xbf59a7d5, v29, -v159
	v_mul_f32_e32 v181, 0x3f2c7751, v137
	v_mul_f32_e32 v164, 0xbe3c28d5, v137
	v_fmamk_f32 v5, v110, 0xbf59a7d5, v8
	v_mul_f32_e32 v174, 0x3f4c4adb, v135
	v_add_f32_e32 v3, v4, v3
	v_fma_f32 v4, 0x3dbcf732, v46, -v160
	v_fma_f32 v184, 0x3f3d2fb0, v47, -v181
	v_mul_f32_e32 v161, 0x3f65296c, v25
	v_fma_f32 v166, 0xbf7ba420, v47, -v164
	v_add_f32_e32 v5, v45, v5
	v_add_f32_e32 v3, v4, v3
	v_fma_f32 v4, 0x3f3d2fb0, v48, -v162
	v_fmamk_f32 v7, v138, 0x3ee437d1, v161
	v_fma_f32 v8, 0xbf59a7d5, v110, -v8
	v_mul_f32_e32 v167, 0xbeb8f4ab, v19
	v_mul_f32_e32 v180, 0xbf06c442, v22
	s_delay_alu instid0(VALU_DEP_4) | instskip(NEXT) | instid1(VALU_DEP_4)
	v_dual_add_f32 v4, v4, v3 :: v_dual_add_f32 v3, v7, v2
	v_add_f32_e32 v8, v45, v8
	v_fma_f32 v7, 0x3ee437d1, v27, -v170
	v_fmac_f32_e32 v170, 0x3ee437d1, v27
	s_delay_alu instid0(VALU_DEP_4)
	v_add_f32_e32 v2, v166, v4
	v_mul_f32_e32 v155, 0xbf4c4adb, v140
	v_mul_f32_e32 v166, 0xbf06c442, v136
	v_fmac_f32_e32 v17, 0xbf59a7d5, v27
	v_fmac_f32_e32 v181, 0x3f3d2fb0, v47
	v_fmac_f32_e32 v159, 0xbf59a7d5, v29
	v_fma_f32 v6, 0xbf1a4643, v49, -v155
	v_mul_f32_e32 v178, 0xbe3c28d5, v61
	v_fma_f32 v15, 0x3f6eb680, v76, -v15
	v_dual_add_f32 v70, v44, v70 :: v_dual_mul_f32 v195, 0x3eb8f4ab, v140
	s_delay_alu instid0(VALU_DEP_4) | instskip(SKIP_2) | instid1(VALU_DEP_4)
	v_add_f32_e32 v0, v6, v0
	v_fmamk_f32 v6, v125, 0x3ee437d1, v9
	v_fma_f32 v9, 0x3ee437d1, v125, -v9
	v_dual_fmac_f32 v149, 0x3f6eb680, v47 :: v_dual_add_f32 v70, v71, v70
	s_delay_alu instid0(VALU_DEP_3) | instskip(SKIP_1) | instid1(VALU_DEP_4)
	v_dual_mul_f32 v190, 0xbf06c442, v134 :: v_dual_add_f32 v5, v6, v5
	v_fmamk_f32 v6, v126, 0x3dbcf732, v163
	v_dual_add_f32 v8, v9, v8 :: v_dual_mul_f32 v175, 0xbeb8f4ab, v53
	v_fma_f32 v173, 0x3ee437d1, v49, -v169
	v_fmac_f32_e32 v143, 0x3f3d2fb0, v28
	s_delay_alu instid0(VALU_DEP_4) | instskip(SKIP_1) | instid1(VALU_DEP_4)
	v_dual_add_f32 v5, v6, v5 :: v_dual_fmamk_f32 v6, v131, 0xbf1a4643, v165
	v_mul_f32_e32 v188, 0xbf763a35, v24
	v_dual_add_f32 v2, v173, v2 :: v_dual_mul_f32 v173, 0xbe3c28d5, v21
	v_fmac_f32_e32 v158, 0x3f6eb680, v28
	s_delay_alu instid0(VALU_DEP_4)
	v_dual_add_f32 v4, v6, v5 :: v_dual_fmamk_f32 v5, v132, 0x3f6eb680, v167
	v_fma_f32 v6, 0xbf59a7d5, v26, -v166
	v_fmac_f32_e32 v166, 0xbf59a7d5, v26
	v_fmac_f32_e32 v155, 0xbf1a4643, v49
	v_fmac_f32_e32 v162, 0x3f3d2fb0, v48
	v_dual_add_f32 v4, v5, v4 :: v_dual_fmamk_f32 v5, v139, 0xbf7ba420, v168
	s_delay_alu instid0(VALU_DEP_4) | instskip(SKIP_2) | instid1(VALU_DEP_4)
	v_add_f32_e32 v166, v44, v166
	v_dual_add_f32 v6, v44, v6 :: v_dual_mul_f32 v177, 0x3eb8f4ab, v20
	v_fmac_f32_e32 v164, 0xbf7ba420, v47
	v_add_f32_e32 v4, v5, v4
	s_delay_alu instid0(VALU_DEP_4) | instskip(NEXT) | instid1(VALU_DEP_4)
	v_dual_add_f32 v166, v170, v166 :: v_dual_fmamk_f32 v5, v76, 0x3f3d2fb0, v171
	v_add_f32_e32 v6, v7, v6
	v_fma_f32 v7, 0x3dbcf732, v28, -v172
	v_fmac_f32_e32 v172, 0x3dbcf732, v28
	s_delay_alu instid0(VALU_DEP_4) | instskip(NEXT) | instid1(VALU_DEP_3)
	v_dual_fmamk_f32 v183, v138, 0xbe8c1d8e, v176 :: v_dual_add_f32 v4, v5, v4
	v_dual_fmac_f32 v156, 0xbe8c1d8e, v27 :: v_dual_add_f32 v5, v7, v6
	v_fma_f32 v6, 0xbf1a4643, v29, -v174
	s_delay_alu instid0(VALU_DEP_4) | instskip(SKIP_2) | instid1(VALU_DEP_4)
	v_add_f32_e32 v166, v172, v166
	v_fmac_f32_e32 v174, 0xbf1a4643, v29
	v_fmac_f32_e32 v160, 0x3dbcf732, v46
	v_dual_fmac_f32 v146, 0xbf7ba420, v46 :: v_dual_add_f32 v5, v6, v5
	v_fma_f32 v6, 0x3f6eb680, v46, -v175
	v_fmac_f32_e32 v144, 0x3ee437d1, v29
	v_fmac_f32_e32 v148, 0x3dbcf732, v48
	v_mul_f32_e32 v172, 0x3f3d2fb0, v110
	v_add_f32_e32 v106, v106, v45
	v_add_f32_e32 v5, v6, v5
	v_fma_f32 v6, 0xbf7ba420, v48, -v178
	v_fmac_f32_e32 v178, 0xbf7ba420, v48
	s_delay_alu instid0(VALU_DEP_4) | instskip(NEXT) | instid1(VALU_DEP_3)
	v_dual_mul_f32 v71, 0xbf2c7751, v133 :: v_dual_add_f32 v106, v109, v106
	v_dual_add_f32 v6, v6, v5 :: v_dual_add_f32 v5, v183, v4
	v_fma_f32 v163, 0x3dbcf732, v126, -v163
	s_delay_alu instid0(VALU_DEP_3) | instskip(NEXT) | instid1(VALU_DEP_3)
	v_add_f32_e32 v106, v108, v106
	v_add_f32_e32 v4, v184, v6
	v_mul_f32_e32 v6, 0xbe3c28d5, v136
	v_fmamk_f32 v7, v110, 0xbf7ba420, v173
	v_mul_f32_e32 v184, 0xbf763a35, v140
	v_add_f32_e32 v8, v163, v8
	v_fma_f32 v173, 0xbf7ba420, v110, -v173
	v_fma_f32 v186, 0xbf7ba420, v26, -v6
	v_dual_fmac_f32 v6, 0xbf7ba420, v26 :: v_dual_add_f32 v7, v45, v7
	v_fma_f32 v191, 0xbe8c1d8e, v49, -v184
	s_delay_alu instid0(VALU_DEP_3) | instskip(SKIP_1) | instid1(VALU_DEP_3)
	v_dual_add_f32 v173, v45, v173 :: v_dual_add_f32 v186, v44, v186
	v_fmac_f32_e32 v184, 0xbe8c1d8e, v49
	v_dual_mul_f32 v183, 0x3f65296c, v18 :: v_dual_add_f32 v4, v191, v4
	s_delay_alu instid0(VALU_DEP_3) | instskip(SKIP_3) | instid1(VALU_DEP_4)
	v_dual_mul_f32 v191, 0x3f7ee86f, v25 :: v_dual_add_f32 v186, v189, v186
	v_fma_f32 v163, 0xbf1a4643, v131, -v165
	v_fmamk_f32 v179, v125, 0x3f6eb680, v177
	v_fma_f32 v177, 0x3f6eb680, v125, -v177
	v_fmamk_f32 v194, v138, 0x3dbcf732, v191
	v_fma_f32 v189, 0xbf59a7d5, v28, -v190
	v_add_f32_e32 v8, v163, v8
	v_fma_f32 v163, 0x3f6eb680, v132, -v167
	v_add_f32_e32 v7, v179, v7
	v_fmamk_f32 v179, v126, 0xbf59a7d5, v180
	v_add_f32_e32 v173, v177, v173
	v_fma_f32 v177, 0xbf59a7d5, v126, -v180
	v_add_f32_e32 v8, v163, v8
	v_fma_f32 v163, 0xbf7ba420, v139, -v168
	v_fma_f32 v167, 0x3f3d2fb0, v76, -v171
	v_add_f32_e32 v7, v179, v7
	v_fmamk_f32 v179, v131, 0x3f3d2fb0, v182
	v_add_f32_e32 v173, v177, v173
	v_add_f32_e32 v163, v163, v8
	v_fma_f32 v177, 0x3f3d2fb0, v131, -v182
	s_delay_alu instid0(VALU_DEP_4) | instskip(SKIP_1) | instid1(VALU_DEP_4)
	v_dual_mul_f32 v182, 0x3f7ee86f, v140 :: v_dual_add_f32 v7, v179, v7
	v_fmamk_f32 v179, v132, 0xbf1a4643, v185
	v_add_f32_e32 v163, v167, v163
	v_fma_f32 v167, 0xbe8c1d8e, v125, -v11
	v_add_f32_e32 v173, v177, v173
	v_fma_f32 v177, 0xbf1a4643, v132, -v185
	v_add_f32_e32 v185, v44, v6
	v_dual_add_f32 v7, v179, v7 :: v_dual_fmac_f32 v190, 0xbf59a7d5, v28
	v_add_f32_e32 v10, v167, v10
	v_fmamk_f32 v179, v139, 0x3ee437d1, v183
	v_fmac_f32_e32 v175, 0x3f6eb680, v46
	v_dual_mul_f32 v168, 0x3dbcf732, v76 :: v_dual_add_f32 v75, v75, v106
	s_delay_alu instid0(VALU_DEP_4) | instskip(SKIP_4) | instid1(VALU_DEP_4)
	v_add_f32_e32 v10, v150, v10
	v_fma_f32 v150, 0xbf59a7d5, v131, -v151
	v_add_f32_e32 v7, v179, v7
	v_fmamk_f32 v179, v76, 0xbe8c1d8e, v188
	v_dual_mul_f32 v171, 0x3e3c28d5, v134 :: v_dual_add_f32 v72, v72, v75
	v_add_f32_e32 v150, v150, v10
	s_delay_alu instid0(VALU_DEP_3) | instskip(SKIP_2) | instid1(VALU_DEP_4)
	v_dual_mul_f32 v106, 0xbf65296c, v134 :: v_dual_add_f32 v7, v179, v7
	v_add_f32_e32 v179, v189, v186
	v_fma_f32 v186, 0x3f3d2fb0, v29, -v192
	v_dual_mul_f32 v189, 0xbf4c4adb, v53 :: v_dual_add_f32 v150, v152, v150
	v_fma_f32 v152, 0x3f3d2fb0, v139, -v154
	s_delay_alu instid0(VALU_DEP_3) | instskip(NEXT) | instid1(VALU_DEP_3)
	v_dual_fmac_f32 v192, 0x3f3d2fb0, v29 :: v_dual_add_f32 v179, v186, v179
	v_fma_f32 v186, 0xbf1a4643, v46, -v189
	v_mul_f32_e32 v154, 0x3ee437d1, v110
	s_delay_alu instid0(VALU_DEP_4)
	v_add_f32_e32 v150, v152, v150
	v_fma_f32 v152, 0xbf7ba420, v76, -v157
	v_mul_f32_e32 v193, 0x3f65296c, v61
	v_mul_f32_e32 v157, 0xbf1a4643, v125
	v_add_f32_e32 v13, v13, v141
	v_dual_add_f32 v179, v186, v179 :: v_dual_mul_f32 v186, 0xbf763a35, v137
	v_add_f32_e32 v150, v152, v150
	v_fma_f32 v180, 0x3ee437d1, v48, -v193
	s_delay_alu instid0(VALU_DEP_4) | instskip(SKIP_1) | instid1(VALU_DEP_3)
	v_dual_add_f32 v12, v12, v13 :: v_dual_fmac_f32 v193, 0x3ee437d1, v48
	v_mul_f32_e32 v152, 0x3f3d2fb0, v138
	v_dual_add_f32 v72, v73, v72 :: v_dual_add_f32 v179, v180, v179
	s_delay_alu instid0(VALU_DEP_3) | instskip(SKIP_3) | instid1(VALU_DEP_3)
	v_add_f32_e32 v12, v142, v12
	v_fma_f32 v180, 0xbe8c1d8e, v47, -v186
	v_dual_add_f32 v142, v44, v147 :: v_dual_mul_f32 v147, 0x3dbcf732, v110
	v_fmac_f32_e32 v186, 0xbe8c1d8e, v47
	v_dual_add_f32 v14, v14, v12 :: v_dual_add_f32 v179, v180, v179
	v_fma_f32 v180, 0x3dbcf732, v49, -v182
	v_fmac_f32_e32 v187, 0x3f6eb680, v27
	v_add_f32_e32 v17, v17, v142
	s_delay_alu instid0(VALU_DEP_4) | instskip(SKIP_1) | instid1(VALU_DEP_4)
	v_add_f32_e32 v14, v16, v14
	v_fmamk_f32 v16, v21, 0x3f7ee86f, v147
	v_dual_add_f32 v6, v180, v179 :: v_dual_add_f32 v179, v187, v185
	v_fmac_f32_e32 v189, 0xbf1a4643, v46
	s_delay_alu instid0(VALU_DEP_3) | instskip(SKIP_1) | instid1(VALU_DEP_4)
	v_dual_add_f32 v17, v143, v17 :: v_dual_add_f32 v16, v45, v16
	v_add_f32_e32 v173, v177, v173
	v_dual_add_f32 v179, v190, v179 :: v_dual_fmac_f32 v182, 0x3dbcf732, v49
	s_delay_alu instid0(VALU_DEP_3) | instskip(SKIP_2) | instid1(VALU_DEP_4)
	v_add_f32_e32 v17, v144, v17
	v_fmac_f32_e32 v169, 0x3ee437d1, v49
	v_mul_f32_e32 v143, 0xbe8c1d8e, v126
	v_dual_add_f32 v179, v192, v179 :: v_dual_add_f32 v14, v15, v14
	s_delay_alu instid0(VALU_DEP_4) | instskip(SKIP_1) | instid1(VALU_DEP_3)
	v_dual_add_f32 v17, v146, v17 :: v_dual_mul_f32 v144, 0x3f6eb680, v131
	v_mul_f32_e32 v146, 0xbf59a7d5, v139
	v_add_f32_e32 v165, v189, v179
	s_delay_alu instid0(VALU_DEP_3) | instskip(SKIP_1) | instid1(VALU_DEP_3)
	v_dual_add_f32 v70, v105, v70 :: v_dual_add_f32 v17, v148, v17
	v_mul_f32_e32 v148, 0xbf7ee86f, v136
	v_dual_fmamk_f32 v142, v23, 0xbeb8f4ab, v144 :: v_dual_add_f32 v165, v193, v165
	s_delay_alu instid0(VALU_DEP_3) | instskip(SKIP_2) | instid1(VALU_DEP_4)
	v_dual_add_f32 v70, v107, v70 :: v_dual_add_f32 v17, v149, v17
	v_fmac_f32_e32 v153, 0xbf1a4643, v26
	v_mul_f32_e32 v107, 0xbf7ee86f, v135
	v_add_f32_e32 v165, v186, v165
	v_mul_f32_e32 v186, 0xbf7ee86f, v133
	v_mul_f32_e32 v180, 0xbf7ee86f, v137
	v_add_f32_e32 v153, v44, v153
	s_delay_alu instid0(VALU_DEP_4) | instskip(SKIP_2) | instid1(VALU_DEP_4)
	v_dual_mul_f32 v179, 0xbf7ba420, v131 :: v_dual_add_f32 v8, v182, v165
	v_add_f32_e32 v165, v174, v166
	v_fma_f32 v166, 0xbe8c1d8e, v138, -v176
	v_dual_add_f32 v153, v156, v153 :: v_dual_mul_f32 v156, 0x3eb8f4ab, v135
	v_mul_f32_e32 v174, 0x3dbcf732, v125
	s_delay_alu instid0(VALU_DEP_4) | instskip(NEXT) | instid1(VALU_DEP_4)
	v_add_f32_e32 v165, v175, v165
	v_add_f32_e32 v11, v166, v163
	v_mul_f32_e32 v175, 0x3f2c7751, v53
	v_mul_f32_e32 v166, 0xbf65296c, v136
	s_delay_alu instid0(VALU_DEP_4)
	v_dual_fmamk_f32 v176, v20, 0x3f7ee86f, v174 :: v_dual_add_f32 v163, v178, v165
	v_mul_f32_e32 v165, 0x3f6eb680, v139
	v_mul_f32_e32 v178, 0xbeb8f4ab, v61
	;; [unrolled: 1-line block ×4, first 2 shown]
	v_add_f32_e32 v151, v181, v163
	v_fmamk_f32 v167, v18, 0x3eb8f4ab, v165
	v_mul_f32_e32 v163, 0x3f3d2fb0, v132
	v_mul_f32_e32 v181, 0xbf59a7d5, v132
	s_delay_alu instid0(VALU_DEP_4) | instskip(SKIP_4) | instid1(VALU_DEP_4)
	v_dual_mul_f32 v187, 0x3f6eb680, v138 :: v_dual_add_f32 v10, v184, v151
	v_add_f32_e32 v151, v158, v153
	v_fma_f32 v177, 0x3ee437d1, v139, -v183
	v_fmamk_f32 v158, v20, 0x3f4c4adb, v157
	v_fmamk_f32 v105, v27, 0x3f3d2fb0, v71
	v_dual_fmac_f32 v174, 0xbf7ee86f, v20 :: v_dual_add_f32 v151, v159, v151
	s_delay_alu instid0(VALU_DEP_4) | instskip(SKIP_2) | instid1(VALU_DEP_4)
	v_add_f32_e32 v173, v177, v173
	v_fma_f32 v177, 0xbe8c1d8e, v76, -v188
	v_fmamk_f32 v188, v27, 0x3dbcf732, v186
	v_dual_mul_f32 v182, 0xbf06c442, v140 :: v_dual_add_f32 v141, v160, v151
	v_fma_f32 v151, 0x3ee437d1, v138, -v161
	s_delay_alu instid0(VALU_DEP_4)
	v_add_f32_e32 v173, v177, v173
	v_fma_f32 v177, 0x3dbcf732, v138, -v191
	v_mul_f32_e32 v191, 0xbe3c28d5, v135
	v_add_f32_e32 v141, v162, v141
	v_dual_add_f32 v13, v151, v150 :: v_dual_mul_f32 v150, 0xbf7ba420, v125
	v_mul_f32_e32 v159, 0xbf7ba420, v126
	v_mul_f32_e32 v162, 0x3f4c4adb, v137
	s_delay_alu instid0(VALU_DEP_4)
	v_add_f32_e32 v141, v164, v141
	v_add_f32_e32 v7, v194, v7
	v_mul_f32_e32 v151, 0xbe3c28d5, v133
	v_mul_f32_e32 v160, 0xbf06c442, v61
	;; [unrolled: 1-line block ×3, first 2 shown]
	v_dual_add_f32 v12, v169, v141 :: v_dual_fmamk_f32 v141, v20, 0x3e3c28d5, v150
	v_mul_f32_e32 v169, 0xbf4c4adb, v133
	v_mul_f32_e32 v149, 0xbf1a4643, v76
	v_fmac_f32_e32 v150, 0xbe3c28d5, v20
	v_mul_f32_e32 v184, 0xbf2c7751, v136
	v_dual_add_f32 v15, v141, v16 :: v_dual_fmamk_f32 v16, v22, 0xbf763a35, v143
	v_add_f32_e32 v9, v177, v173
	v_fma_f32 v141, 0xbf1a4643, v138, -v145
	v_mul_f32_e32 v145, 0x3ee437d1, v132
	v_fmamk_f32 v170, v27, 0xbf1a4643, v169
	v_add_f32_e32 v16, v16, v15
	v_mul_f32_e32 v173, 0x3f763a35, v135
	v_add_f32_e32 v15, v141, v14
	v_fmamk_f32 v141, v18, 0x3f06c442, v146
	s_delay_alu instid0(VALU_DEP_4) | instskip(SKIP_4) | instid1(VALU_DEP_4)
	v_dual_mul_f32 v161, 0xbe8c1d8e, v131 :: v_dual_add_f32 v14, v142, v16
	v_fmamk_f32 v16, v19, 0x3f65296c, v145
	v_fmamk_f32 v142, v27, 0xbf7ba420, v151
	v_mul_f32_e32 v177, 0xbf1a4643, v126
	v_mul_f32_e32 v126, 0x3ee437d1, v126
	v_dual_mul_f32 v131, 0x3dbcf732, v131 :: v_dual_add_f32 v16, v16, v14
	v_dual_add_f32 v14, v155, v17 :: v_dual_fmamk_f32 v17, v26, 0x3dbcf732, v148
	v_add_f32_e32 v70, v74, v70
	v_fmac_f32_e32 v146, 0xbf06c442, v18
	s_delay_alu instid0(VALU_DEP_4) | instskip(NEXT) | instid1(VALU_DEP_4)
	v_dual_add_f32 v16, v141, v16 :: v_dual_fmamk_f32 v141, v24, 0xbf4c4adb, v149
	v_add_f32_e32 v17, v44, v17
	v_fmac_f32_e32 v149, 0x3f4c4adb, v24
	v_mul_f32_e32 v125, 0x3f3d2fb0, v125
	v_mul_f32_e32 v190, 0x3f6eb680, v110
	v_add_f32_e32 v16, v141, v16
	v_dual_fmamk_f32 v141, v25, 0xbf2c7751, v152 :: v_dual_add_f32 v142, v142, v17
	v_dual_fmac_f32 v152, 0x3f2c7751, v25 :: v_dual_add_f32 v59, v59, v70
	s_delay_alu instid0(VALU_DEP_2) | instskip(NEXT) | instid1(VALU_DEP_2)
	v_add_f32_e32 v17, v141, v16
	v_dual_fmamk_f32 v16, v21, 0x3f65296c, v154 :: v_dual_add_f32 v59, v64, v59
	s_delay_alu instid0(VALU_DEP_1) | instskip(NEXT) | instid1(VALU_DEP_2)
	v_add_f32_e32 v16, v45, v16
	v_dual_add_f32 v59, v77, v59 :: v_dual_mul_f32 v194, 0x3f65296c, v137
	s_delay_alu instid0(VALU_DEP_2) | instskip(NEXT) | instid1(VALU_DEP_2)
	v_add_f32_e32 v16, v158, v16
	v_dual_fmamk_f32 v158, v22, 0xbe3c28d5, v159 :: v_dual_add_f32 v59, v67, v59
	s_delay_alu instid0(VALU_DEP_1) | instskip(SKIP_1) | instid1(VALU_DEP_1)
	v_add_f32_e32 v16, v158, v16
	v_fmamk_f32 v158, v23, 0xbf763a35, v161
	v_dual_add_f32 v16, v158, v16 :: v_dual_fmac_f32 v147, 0xbf7ee86f, v21
	v_mul_f32_e32 v132, 0xbe8c1d8e, v132
	v_mul_f32_e32 v153, 0x3f763a35, v134
	v_fmamk_f32 v158, v19, 0xbf2c7751, v163
	s_delay_alu instid0(VALU_DEP_1) | instskip(NEXT) | instid1(VALU_DEP_1)
	v_dual_fmamk_f32 v155, v28, 0xbe8c1d8e, v153 :: v_dual_add_f32 v158, v158, v16
	v_dual_add_f32 v141, v155, v142 :: v_dual_fmamk_f32 v142, v29, 0x3f6eb680, v156
	v_mul_f32_e32 v155, 0xbf65296c, v53
	s_delay_alu instid0(VALU_DEP_2) | instskip(NEXT) | instid1(VALU_DEP_2)
	v_add_f32_e32 v141, v142, v141
	v_fmamk_f32 v142, v46, 0x3ee437d1, v155
	s_delay_alu instid0(VALU_DEP_1) | instskip(NEXT) | instid1(VALU_DEP_1)
	v_dual_add_f32 v141, v142, v141 :: v_dual_fmamk_f32 v142, v48, 0xbf59a7d5, v160
	v_dual_add_f32 v141, v142, v141 :: v_dual_fmamk_f32 v142, v47, 0xbf1a4643, v162
	s_delay_alu instid0(VALU_DEP_1) | instskip(NEXT) | instid1(VALU_DEP_1)
	v_dual_add_f32 v141, v142, v141 :: v_dual_fmamk_f32 v142, v49, 0x3f3d2fb0, v164
	v_add_f32_e32 v16, v142, v141
	v_dual_fmamk_f32 v141, v26, 0x3ee437d1, v166 :: v_dual_add_f32 v142, v167, v158
	v_fmamk_f32 v158, v24, 0x3f7ee86f, v168
	v_dual_mul_f32 v167, 0xbf59a7d5, v138 :: v_dual_add_f32 v66, v66, v72
	v_fmac_f32_e32 v143, 0x3f763a35, v22
	s_delay_alu instid0(VALU_DEP_3) | instskip(SKIP_3) | instid1(VALU_DEP_4)
	v_dual_add_f32 v141, v44, v141 :: v_dual_add_f32 v142, v158, v142
	v_mul_f32_e32 v72, 0xbf7ba420, v138
	v_fmac_f32_e32 v168, 0xbf7ee86f, v24
	v_fmac_f32_e32 v145, 0xbf65296c, v19
	v_dual_add_f32 v141, v170, v141 :: v_dual_fmamk_f32 v170, v28, 0xbf7ba420, v171
	s_delay_alu instid0(VALU_DEP_1) | instskip(SKIP_1) | instid1(VALU_DEP_2)
	v_dual_add_f32 v141, v170, v141 :: v_dual_fmamk_f32 v170, v29, 0xbe8c1d8e, v173
	v_fmac_f32_e32 v161, 0x3f763a35, v23
	v_add_f32_e32 v141, v170, v141
	v_fmamk_f32 v170, v46, 0x3f3d2fb0, v175
	v_fmac_f32_e32 v163, 0x3f2c7751, v19
	s_delay_alu instid0(VALU_DEP_2) | instskip(NEXT) | instid1(VALU_DEP_1)
	v_dual_add_f32 v141, v170, v141 :: v_dual_fmamk_f32 v170, v48, 0x3f6eb680, v178
	v_dual_add_f32 v141, v170, v141 :: v_dual_fmamk_f32 v170, v47, 0x3dbcf732, v180
	s_delay_alu instid0(VALU_DEP_1) | instskip(SKIP_3) | instid1(VALU_DEP_4)
	v_dual_add_f32 v141, v170, v141 :: v_dual_fmamk_f32 v170, v49, 0xbf59a7d5, v182
	v_fmamk_f32 v158, v25, 0x3f06c442, v167
	v_fmac_f32_e32 v167, 0xbf06c442, v25
	v_fmac_f32_e32 v144, 0x3eb8f4ab, v23
	v_dual_mul_f32 v76, 0xbf59a7d5, v76 :: v_dual_add_f32 v141, v170, v141
	s_delay_alu instid0(VALU_DEP_4) | instskip(SKIP_2) | instid1(VALU_DEP_4)
	v_add_f32_e32 v142, v158, v142
	v_fmamk_f32 v158, v21, 0x3f2c7751, v172
	v_fmamk_f32 v170, v26, 0x3f3d2fb0, v184
	;; [unrolled: 1-line block ×4, first 2 shown]
	s_delay_alu instid0(VALU_DEP_4) | instskip(NEXT) | instid1(VALU_DEP_4)
	v_dual_mul_f32 v183, 0xbe8c1d8e, v139 :: v_dual_add_f32 v158, v45, v158
	v_dual_add_f32 v170, v44, v170 :: v_dual_mul_f32 v139, 0xbf1a4643, v139
	v_dual_fmac_f32 v125, 0xbf2c7751, v20 :: v_dual_fmac_f32 v172, 0xbf2c7751, v21
	s_delay_alu instid0(VALU_DEP_3) | instskip(NEXT) | instid1(VALU_DEP_3)
	v_add_f32_e32 v158, v176, v158
	v_add_f32_e32 v170, v188, v170
	v_fmamk_f32 v188, v28, 0xbf1a4643, v189
	v_fmamk_f32 v176, v22, 0x3f4c4adb, v177
	v_dual_add_f32 v54, v54, v59 :: v_dual_fmac_f32 v177, 0xbf4c4adb, v22
	s_delay_alu instid0(VALU_DEP_3) | instskip(NEXT) | instid1(VALU_DEP_3)
	v_add_f32_e32 v170, v188, v170
	v_add_f32_e32 v158, v176, v158
	v_fmamk_f32 v176, v23, 0x3e3c28d5, v179
	v_dual_add_f32 v60, v60, v66 :: v_dual_fmac_f32 v157, 0xbf4c4adb, v20
	v_mul_f32_e32 v188, 0x3f06c442, v53
	v_add_f32_e32 v54, v58, v54
	s_delay_alu instid0(VALU_DEP_4) | instskip(SKIP_2) | instid1(VALU_DEP_4)
	v_add_f32_e32 v158, v176, v158
	v_fmamk_f32 v176, v19, 0xbf06c442, v181
	v_dual_add_f32 v52, v52, v60 :: v_dual_fmac_f32 v179, 0xbe3c28d5, v23
	v_add_f32_e32 v54, v56, v54
	s_delay_alu instid0(VALU_DEP_3) | instskip(NEXT) | instid1(VALU_DEP_3)
	v_add_f32_e32 v158, v176, v158
	v_dual_add_f32 v52, v65, v52 :: v_dual_fmac_f32 v165, 0xbeb8f4ab, v18
	v_fmamk_f32 v176, v18, 0xbf763a35, v183
	s_delay_alu instid0(VALU_DEP_4) | instskip(NEXT) | instid1(VALU_DEP_3)
	v_dual_add_f32 v54, v63, v54 :: v_dual_mul_f32 v65, 0xbe3c28d5, v140
	v_dual_add_f32 v52, v55, v52 :: v_dual_add_f32 v55, v45, v147
	s_delay_alu instid0(VALU_DEP_3) | instskip(SKIP_1) | instid1(VALU_DEP_4)
	v_add_f32_e32 v158, v176, v158
	v_fmamk_f32 v176, v24, 0xbf65296c, v185
	v_dual_add_f32 v54, v51, v54 :: v_dual_fmac_f32 v185, 0x3f65296c, v24
	s_delay_alu instid0(VALU_DEP_4) | instskip(NEXT) | instid1(VALU_DEP_3)
	v_dual_add_f32 v52, v57, v52 :: v_dual_add_f32 v55, v150, v55
	v_add_f32_e32 v158, v176, v158
	v_fmamk_f32 v176, v25, 0xbeb8f4ab, v187
	v_mul_f32_e32 v136, 0xbeb8f4ab, v136
	v_dual_mul_f32 v70, 0xbf763a35, v53 :: v_dual_add_f32 v31, v31, v54
	s_delay_alu instid0(VALU_DEP_3) | instskip(SKIP_3) | instid1(VALU_DEP_3)
	v_dual_add_f32 v55, v143, v55 :: v_dual_add_f32 v110, v176, v158
	v_fmamk_f32 v158, v21, 0x3eb8f4ab, v190
	v_fmamk_f32 v176, v29, 0xbf7ba420, v191
	v_dual_fmamk_f32 v66, v25, 0x3e3c28d5, v72 :: v_dual_fmac_f32 v159, 0x3e3c28d5, v22
	v_dual_add_f32 v55, v144, v55 :: v_dual_add_f32 v158, v45, v158
	s_delay_alu instid0(VALU_DEP_3) | instskip(SKIP_2) | instid1(VALU_DEP_4)
	v_add_f32_e32 v170, v176, v170
	v_fmamk_f32 v176, v46, 0xbf59a7d5, v188
	v_add_f32_e32 v50, v50, v31
	v_dual_add_f32 v55, v145, v55 :: v_dual_add_f32 v158, v192, v158
	v_fmamk_f32 v192, v22, 0x3f65296c, v126
	s_delay_alu instid0(VALU_DEP_4) | instskip(NEXT) | instid1(VALU_DEP_3)
	v_dual_mul_f32 v193, 0x3f763a35, v61 :: v_dual_add_f32 v170, v176, v170
	v_dual_mul_f32 v61, 0xbf4c4adb, v61 :: v_dual_add_f32 v54, v146, v55
	s_delay_alu instid0(VALU_DEP_3) | instskip(NEXT) | instid1(VALU_DEP_3)
	v_add_f32_e32 v158, v192, v158
	v_fmamk_f32 v176, v48, 0xbe8c1d8e, v193
	v_fmamk_f32 v192, v23, 0x3f7ee86f, v131
	s_delay_alu instid0(VALU_DEP_4) | instskip(SKIP_1) | instid1(VALU_DEP_4)
	v_dual_fmamk_f32 v64, v46, 0xbe8c1d8e, v70 :: v_dual_add_f32 v31, v149, v54
	v_fmamk_f32 v58, v49, 0xbf7ba420, v65
	v_add_f32_e32 v170, v176, v170
	v_fmamk_f32 v176, v47, 0x3ee437d1, v194
	v_add_f32_e32 v158, v192, v158
	v_dual_fmamk_f32 v192, v19, 0x3f763a35, v132 :: v_dual_fmac_f32 v183, 0x3f763a35, v18
	v_fmac_f32_e32 v154, 0xbf65296c, v21
	s_delay_alu instid0(VALU_DEP_4) | instskip(SKIP_1) | instid1(VALU_DEP_4)
	v_add_f32_e32 v170, v176, v170
	v_fmamk_f32 v176, v49, 0x3f6eb680, v195
	v_add_f32_e32 v158, v192, v158
	v_fmac_f32_e32 v190, 0xbeb8f4ab, v21
	v_fma_f32 v55, 0x3f6eb680, v29, -v156
	v_fmac_f32_e32 v126, 0xbf65296c, v22
	v_dual_add_f32 v109, v176, v170 :: v_dual_fmamk_f32 v170, v26, 0x3f6eb680, v136
	v_fmac_f32_e32 v131, 0xbf7ee86f, v23
	v_fmac_f32_e32 v181, 0x3f06c442, v19
	v_fma_f32 v23, 0xbe8c1d8e, v48, -v193
	s_delay_alu instid0(VALU_DEP_4) | instskip(SKIP_2) | instid1(VALU_DEP_3)
	v_dual_fmac_f32 v187, 0x3eb8f4ab, v25 :: v_dual_add_f32 v108, v44, v170
	v_fmac_f32_e32 v132, 0xbf763a35, v19
	v_fmac_f32_e32 v76, 0xbf06c442, v24
	v_add_f32_e32 v75, v105, v108
	v_fmamk_f32 v105, v28, 0x3ee437d1, v106
	s_delay_alu instid0(VALU_DEP_1) | instskip(SKIP_1) | instid1(VALU_DEP_1)
	v_add_f32_e32 v74, v105, v75
	v_fmamk_f32 v75, v29, 0x3dbcf732, v107
	v_add_f32_e32 v53, v75, v74
	s_delay_alu instid0(VALU_DEP_1) | instskip(SKIP_1) | instid1(VALU_DEP_1)
	v_add_f32_e32 v60, v64, v53
	v_fmamk_f32 v64, v48, 0xbf1a4643, v61
	v_add_f32_e32 v60, v64, v60
	v_mul_f32_e32 v64, 0xbf06c442, v137
	s_delay_alu instid0(VALU_DEP_1) | instskip(SKIP_2) | instid1(VALU_DEP_2)
	v_fmamk_f32 v59, v47, 0xbf59a7d5, v64
	v_fmamk_f32 v192, v18, 0x3f4c4adb, v139
	v_fmac_f32_e32 v139, 0xbf4c4adb, v18
	v_dual_add_f32 v57, v59, v60 :: v_dual_add_f32 v158, v192, v158
	v_add_f32_e32 v59, v69, v52
	v_fma_f32 v60, 0xbf59a7d5, v49, -v182
	s_delay_alu instid0(VALU_DEP_3) | instskip(SKIP_1) | instid1(VALU_DEP_4)
	v_add_f32_e32 v52, v58, v57
	v_fma_f32 v57, 0x3dbcf732, v26, -v148
	v_add_f32_e32 v56, v68, v59
	v_fma_f32 v58, 0xbf7ba420, v27, -v151
	v_fma_f32 v59, 0x3dbcf732, v27, -v186
	v_add_f32_e32 v73, v133, v158
	s_delay_alu instid0(VALU_DEP_4) | instskip(SKIP_1) | instid1(VALU_DEP_3)
	v_dual_add_f32 v57, v44, v57 :: v_dual_add_f32 v56, v62, v56
	v_fma_f32 v22, 0x3ee437d1, v28, -v106
	v_dual_add_f32 v54, v45, v154 :: v_dual_add_f32 v53, v66, v73
	s_delay_alu instid0(VALU_DEP_3) | instskip(NEXT) | instid1(VALU_DEP_4)
	v_add_f32_e32 v51, v30, v56
	v_add_f32_e32 v30, v58, v57
	v_fma_f32 v56, 0xbe8c1d8e, v28, -v153
	v_add_f32_e32 v58, v45, v172
	v_add_f32_e32 v45, v45, v190
	v_fma_f32 v57, 0xbf1a4643, v27, -v169
	;; [unrolled: 3-line block ×3, first 2 shown]
	s_delay_alu instid0(VALU_DEP_3) | instskip(NEXT) | instid1(VALU_DEP_3)
	v_add_f32_e32 v54, v159, v54
	v_add_f32_e32 v30, v55, v30
	v_fma_f32 v55, 0x3ee437d1, v46, -v155
	s_delay_alu instid0(VALU_DEP_4) | instskip(NEXT) | instid1(VALU_DEP_4)
	v_add_f32_e32 v56, v44, v56
	v_add_f32_e32 v54, v161, v54
	s_delay_alu instid0(VALU_DEP_3) | instskip(SKIP_1) | instid1(VALU_DEP_4)
	v_add_f32_e32 v30, v55, v30
	v_fma_f32 v55, 0xbf59a7d5, v48, -v160
	v_add_f32_e32 v56, v57, v56
	v_fma_f32 v57, 0xbf7ba420, v28, -v171
	v_add_f32_e32 v54, v163, v54
	s_delay_alu instid0(VALU_DEP_4) | instskip(SKIP_1) | instid1(VALU_DEP_3)
	v_add_f32_e32 v30, v55, v30
	v_fma_f32 v55, 0xbf1a4643, v47, -v162
	v_add_f32_e32 v54, v165, v54
	s_delay_alu instid0(VALU_DEP_2) | instskip(SKIP_2) | instid1(VALU_DEP_4)
	v_dual_add_f32 v30, v55, v30 :: v_dual_add_f32 v55, v57, v56
	v_fma_f32 v56, 0xbe8c1d8e, v29, -v173
	v_fma_f32 v57, 0x3f3d2fb0, v49, -v164
	v_add_f32_e32 v54, v168, v54
	s_delay_alu instid0(VALU_DEP_3) | instskip(SKIP_1) | instid1(VALU_DEP_4)
	v_add_f32_e32 v55, v56, v55
	v_fma_f32 v56, 0x3f3d2fb0, v46, -v175
	v_add_f32_e32 v30, v57, v30
	v_add_f32_e32 v57, v174, v58
	v_fma_f32 v58, 0x3f3d2fb0, v26, -v184
	v_fma_f32 v26, 0x3f6eb680, v26, -v136
	v_add_f32_e32 v55, v56, v55
	v_fma_f32 v56, 0x3f6eb680, v48, -v178
	s_delay_alu instid0(VALU_DEP_4) | instskip(NEXT) | instid1(VALU_DEP_2)
	v_dual_add_f32 v57, v177, v57 :: v_dual_add_f32 v58, v44, v58
	v_add_f32_e32 v55, v56, v55
	v_fma_f32 v56, 0x3dbcf732, v47, -v180
	s_delay_alu instid0(VALU_DEP_3) | instskip(NEXT) | instid1(VALU_DEP_4)
	v_add_f32_e32 v57, v179, v57
	v_add_f32_e32 v58, v59, v58
	v_fma_f32 v59, 0xbf1a4643, v28, -v189
	s_delay_alu instid0(VALU_DEP_4) | instskip(NEXT) | instid1(VALU_DEP_1)
	v_dual_add_f32 v56, v56, v55 :: v_dual_add_f32 v55, v167, v54
	v_dual_add_f32 v21, v59, v58 :: v_dual_add_f32 v54, v60, v56
	v_add_f32_e32 v56, v181, v57
	v_fma_f32 v57, 0xbf7ba420, v29, -v191
	s_delay_alu instid0(VALU_DEP_2) | instskip(NEXT) | instid1(VALU_DEP_2)
	v_add_f32_e32 v56, v183, v56
	v_dual_add_f32 v20, v57, v21 :: v_dual_add_f32 v21, v44, v26
	v_fma_f32 v26, 0x3f3d2fb0, v27, -v71
	v_fma_f32 v27, 0xbf59a7d5, v46, -v188
	v_add_f32_e32 v44, v125, v45
	s_delay_alu instid0(VALU_DEP_2) | instskip(NEXT) | instid1(VALU_DEP_2)
	v_dual_add_f32 v21, v26, v21 :: v_dual_add_f32 v20, v27, v20
	v_add_f32_e32 v26, v126, v44
	v_add_f32_e32 v27, v185, v56
	s_delay_alu instid0(VALU_DEP_3) | instskip(SKIP_1) | instid1(VALU_DEP_4)
	v_add_f32_e32 v21, v22, v21
	v_fma_f32 v22, 0x3dbcf732, v29, -v107
	v_add_f32_e32 v26, v131, v26
	s_delay_alu instid0(VALU_DEP_2) | instskip(SKIP_2) | instid1(VALU_DEP_4)
	v_dual_add_f32 v19, v23, v20 :: v_dual_add_f32 v20, v22, v21
	v_fma_f32 v21, 0xbe8c1d8e, v46, -v70
	v_fma_f32 v22, 0x3ee437d1, v47, -v194
	v_add_f32_e32 v23, v132, v26
	v_dual_add_f32 v31, v152, v31 :: v_dual_fmac_f32 v72, 0xbe3c28d5, v25
	s_delay_alu instid0(VALU_DEP_4) | instskip(SKIP_4) | instid1(VALU_DEP_4)
	v_add_f32_e32 v18, v21, v20
	v_fma_f32 v20, 0xbf1a4643, v48, -v61
	v_add_f32_e32 v21, v22, v19
	v_dual_add_f32 v19, v139, v23 :: v_dual_and_b32 v22, 0xffff, v130
	v_fma_f32 v23, 0x3f6eb680, v49, -v195
	v_add_f32_e32 v18, v20, v18
	v_fma_f32 v20, 0xbf59a7d5, v47, -v64
	s_delay_alu instid0(VALU_DEP_4) | instskip(SKIP_2) | instid1(VALU_DEP_4)
	v_add_f32_e32 v24, v76, v19
	v_mul_u32_u24_e32 v22, 51, v22
	v_fma_f32 v25, 0xbf7ba420, v49, -v65
	v_dual_add_f32 v19, v187, v27 :: v_dual_add_f32 v20, v20, v18
	v_add_f32_e32 v18, v23, v21
	s_delay_alu instid0(VALU_DEP_4) | instskip(SKIP_1) | instid1(VALU_DEP_4)
	v_add_lshl_u32 v22, v22, v129, 3
	v_add_f32_e32 v21, v72, v24
	v_add_f32_e32 v20, v25, v20
	ds_store_2addr_b64 v22, v[50:51], v[52:53] offset1:3
	ds_store_2addr_b64 v22, v[109:110], v[141:142] offset0:6 offset1:9
	ds_store_2addr_b64 v22, v[16:17], v[14:15] offset0:12 offset1:15
	;; [unrolled: 1-line block ×7, first 2 shown]
	ds_store_b64 v22, v[20:21] offset:384
.LBB0_21:
	s_wait_alu 0xfffe
	s_or_b32 exec_lo, exec_lo, s1
	global_wb scope:SCOPE_SE
	s_wait_dscnt 0x0
	s_barrier_signal -1
	s_barrier_wait -1
	global_inv scope:SCOPE_SE
	ds_load_2addr_b64 v[3:6], v127 offset0:102 offset1:153
	ds_load_2addr_b64 v[7:10], v127 offset0:204 offset1:255
	v_add_nc_u32_e32 v1, 0x800, v127
	v_add_nc_u32_e32 v2, 0xc00, v127
	;; [unrolled: 1-line block ×3, first 2 shown]
	s_mov_b32 s2, 0x16f26017
	s_mov_b32 s3, 0x3f56f260
	s_wait_dscnt 0x1
	v_mul_f32_e32 v31, v41, v4
	s_wait_dscnt 0x0
	v_mul_f32_e32 v45, v43, v8
	ds_load_2addr_b64 v[11:14], v1 offset0:50 offset1:101
	ds_load_2addr_b64 v[15:18], v1 offset0:152 offset1:203
	;; [unrolled: 1-line block ×4, first 2 shown]
	v_mul_f32_e32 v44, v41, v3
	v_mul_f32_e32 v46, v43, v7
	v_fmac_f32_e32 v31, v40, v3
	v_fmac_f32_e32 v45, v42, v7
	ds_load_2addr_b64 v[27:30], v127 offset1:51
	v_fma_f32 v3, v40, v4, -v44
	global_wb scope:SCOPE_SE
	s_wait_dscnt 0x0
	s_barrier_signal -1
	s_barrier_wait -1
	global_inv scope:SCOPE_SE
	v_mul_f32_e32 v7, v37, v12
	v_fma_f32 v4, v42, v8, -v46
	v_dual_mul_f32 v46, v39, v15 :: v_dual_mul_f32 v47, v33, v20
	v_mul_f32_e32 v8, v37, v11
	s_delay_alu instid0(VALU_DEP_4) | instskip(NEXT) | instid1(VALU_DEP_3)
	v_dual_mul_f32 v44, v39, v16 :: v_dual_fmac_f32 v7, v36, v11
	v_fma_f32 v11, v38, v16, -v46
	v_mul_f32_e32 v16, v35, v23
	s_delay_alu instid0(VALU_DEP_4) | instskip(NEXT) | instid1(VALU_DEP_4)
	v_fma_f32 v8, v36, v12, -v8
	v_fmac_f32_e32 v44, v38, v15
	v_dual_mul_f32 v12, v33, v19 :: v_dual_mul_f32 v15, v35, v24
	s_delay_alu instid0(VALU_DEP_4)
	v_fma_f32 v16, v34, v24, -v16
	v_fmac_f32_e32 v47, v32, v19
	v_mul_f32_e32 v19, v41, v6
	v_mul_f32_e32 v41, v41, v5
	v_dual_mul_f32 v24, v37, v14 :: v_dual_fmac_f32 v15, v34, v23
	v_mul_f32_e32 v23, v43, v10
	v_fma_f32 v12, v32, v20, -v12
	v_fmac_f32_e32 v19, v40, v5
	s_delay_alu instid0(VALU_DEP_4)
	v_fmac_f32_e32 v24, v36, v13
	v_fma_f32 v20, v40, v6, -v41
	v_mul_f32_e32 v6, v37, v13
	v_mul_f32_e32 v5, v43, v9
	;; [unrolled: 1-line block ×3, first 2 shown]
	v_add_f32_e32 v13, v4, v12
	v_dual_fmac_f32 v23, v42, v9 :: v_dual_sub_f32 v4, v4, v12
	s_delay_alu instid0(VALU_DEP_4)
	v_fma_f32 v40, v42, v10, -v5
	v_fma_f32 v36, v36, v14, -v6
	v_mul_f32_e32 v5, v39, v17
	v_mul_f32_e32 v6, v33, v21
	v_dual_fmac_f32 v37, v38, v17 :: v_dual_add_f32 v12, v7, v44
	v_mul_f32_e32 v17, v33, v22
	v_sub_f32_e32 v7, v44, v7
	s_delay_alu instid0(VALU_DEP_2) | instskip(SKIP_4) | instid1(VALU_DEP_2)
	v_fmac_f32_e32 v17, v32, v21
	v_fma_f32 v21, v32, v22, -v6
	v_add_f32_e32 v6, v3, v16
	v_dual_mul_f32 v9, v35, v25 :: v_dual_add_f32 v10, v45, v47
	v_sub_f32_e32 v14, v45, v47
	v_fma_f32 v22, v34, v26, -v9
	v_sub_f32_e32 v9, v31, v15
	v_dual_sub_f32 v3, v3, v16 :: v_dual_add_f32 v16, v13, v6
	v_fma_f32 v18, v38, v18, -v5
	v_add_f32_e32 v5, v31, v15
	v_dual_add_f32 v15, v8, v11 :: v_dual_sub_f32 v8, v11, v8
	v_mul_f32_e32 v33, v35, v26
	v_sub_f32_e32 v26, v13, v6
	s_delay_alu instid0(VALU_DEP_3) | instskip(NEXT) | instid1(VALU_DEP_4)
	v_sub_f32_e32 v6, v6, v15
	v_dual_add_f32 v32, v8, v4 :: v_dual_add_f32 v11, v10, v5
	s_delay_alu instid0(VALU_DEP_4) | instskip(SKIP_2) | instid1(VALU_DEP_4)
	v_fmac_f32_e32 v33, v34, v25
	v_sub_f32_e32 v35, v8, v4
	v_dual_sub_f32 v25, v10, v5 :: v_dual_sub_f32 v10, v12, v10
	v_dual_add_f32 v11, v12, v11 :: v_dual_mul_f32 v6, 0x3f4a47b2, v6
	v_sub_f32_e32 v13, v15, v13
	v_sub_f32_e32 v5, v5, v12
	v_add_f32_e32 v12, v15, v16
	v_dual_sub_f32 v34, v7, v14 :: v_dual_sub_f32 v15, v4, v3
	s_delay_alu instid0(VALU_DEP_2) | instskip(SKIP_2) | instid1(VALU_DEP_3)
	v_dual_add_f32 v4, v28, v12 :: v_dual_add_f32 v31, v7, v14
	v_sub_f32_e32 v14, v14, v9
	v_dual_sub_f32 v8, v3, v8 :: v_dual_sub_f32 v7, v9, v7
	v_dual_fmamk_f32 v12, v12, 0xbf955555, v4 :: v_dual_add_f32 v9, v31, v9
	v_mul_f32_e32 v31, 0x3f08b237, v34
	s_delay_alu instid0(VALU_DEP_4) | instskip(SKIP_4) | instid1(VALU_DEP_4)
	v_mul_f32_e32 v34, 0xbf5ff5aa, v14
	v_dual_mul_f32 v28, 0x3d64c772, v13 :: v_dual_fmamk_f32 v13, v13, 0x3d64c772, v6
	v_fma_f32 v6, 0xbf3bfb3b, v26, -v6
	v_add_f32_e32 v16, v32, v3
	v_fma_f32 v14, 0xbf5ff5aa, v14, -v31
	v_fma_f32 v28, 0x3f3bfb3b, v26, -v28
	s_delay_alu instid0(VALU_DEP_4) | instskip(SKIP_1) | instid1(VALU_DEP_2)
	v_dual_add_f32 v38, v6, v12 :: v_dual_add_f32 v3, v27, v11
	v_mul_f32_e32 v5, 0x3f4a47b2, v5
	v_fmamk_f32 v11, v11, 0xbf955555, v3
	s_delay_alu instid0(VALU_DEP_2) | instskip(SKIP_2) | instid1(VALU_DEP_3)
	v_dual_mul_f32 v27, 0x3d64c772, v10 :: v_dual_fmamk_f32 v10, v10, 0x3d64c772, v5
	v_mul_f32_e32 v32, 0x3f08b237, v35
	v_fma_f32 v5, 0xbf3bfb3b, v25, -v5
	v_fma_f32 v27, 0x3f3bfb3b, v25, -v27
	s_delay_alu instid0(VALU_DEP_3) | instskip(SKIP_3) | instid1(VALU_DEP_4)
	v_dual_fmamk_f32 v26, v8, 0xbeae86e6, v32 :: v_dual_fmamk_f32 v25, v7, 0xbeae86e6, v31
	v_fma_f32 v31, 0x3eae86e6, v7, -v34
	v_add_f32_e32 v34, v10, v11
	v_fmac_f32_e32 v14, 0xbee1c552, v9
	v_fmac_f32_e32 v26, 0xbee1c552, v16
	v_mul_f32_e32 v35, 0xbf5ff5aa, v15
	v_fma_f32 v15, 0xbf5ff5aa, v15, -v32
	v_fmac_f32_e32 v25, 0xbee1c552, v9
	v_fmac_f32_e32 v31, 0xbee1c552, v9
	s_delay_alu instid0(VALU_DEP_4)
	v_fma_f32 v32, 0x3eae86e6, v8, -v35
	v_add_f32_e32 v35, v13, v12
	v_add_f32_e32 v13, v27, v11
	v_add_f32_e32 v27, v28, v12
	v_fmac_f32_e32 v15, 0xbee1c552, v16
	v_fmac_f32_e32 v32, 0xbee1c552, v16
	s_delay_alu instid0(VALU_DEP_3) | instskip(SKIP_1) | instid1(VALU_DEP_4)
	v_add_f32_e32 v10, v14, v27
	v_dual_add_f32 v28, v5, v11 :: v_dual_add_f32 v5, v26, v34
	v_sub_f32_e32 v9, v13, v15
	v_add_f32_e32 v11, v15, v13
	v_sub_f32_e32 v15, v34, v26
	v_add_f32_e32 v26, v20, v22
	v_add_f32_e32 v7, v32, v28
	v_sub_f32_e32 v13, v28, v32
	v_sub_f32_e32 v20, v20, v22
	v_add_f32_e32 v22, v23, v17
	v_sub_f32_e32 v17, v23, v17
	v_add_f32_e32 v23, v24, v37
	v_add_f32_e32 v28, v36, v18
	;; [unrolled: 1-line block ×3, first 2 shown]
	v_dual_sub_f32 v12, v27, v14 :: v_dual_add_f32 v27, v40, v21
	v_sub_f32_e32 v6, v35, v25
	v_sub_f32_e32 v18, v18, v36
	;; [unrolled: 1-line block ×4, first 2 shown]
	v_add_f32_e32 v32, v27, v26
	v_sub_f32_e32 v34, v27, v26
	v_dual_sub_f32 v26, v26, v28 :: v_dual_add_f32 v25, v19, v33
	v_dual_sub_f32 v21, v40, v21 :: v_dual_add_f32 v14, v31, v38
	v_sub_f32_e32 v39, v20, v18
	s_delay_alu instid0(VALU_DEP_3) | instskip(NEXT) | instid1(VALU_DEP_3)
	v_dual_mul_f32 v26, 0x3f4a47b2, v26 :: v_dual_sub_f32 v27, v28, v27
	v_add_f32_e32 v36, v18, v21
	v_add_f32_e32 v28, v28, v32
	v_sub_f32_e32 v38, v18, v21
	v_sub_f32_e32 v19, v19, v33
	v_add_f32_e32 v31, v22, v25
	s_delay_alu instid0(VALU_DEP_4) | instskip(NEXT) | instid1(VALU_DEP_4)
	v_add_f32_e32 v18, v30, v28
	v_dual_mul_f32 v32, 0x3f08b237, v38 :: v_dual_sub_f32 v33, v22, v25
	v_dual_mul_f32 v30, 0x3d64c772, v27 :: v_dual_fmamk_f32 v27, v27, 0x3d64c772, v26
	s_delay_alu instid0(VALU_DEP_3)
	v_fmamk_f32 v28, v28, 0xbf955555, v18
	v_sub_f32_e32 v22, v23, v22
	v_fma_f32 v26, 0xbf3bfb3b, v34, -v26
	v_sub_f32_e32 v37, v24, v17
	v_fma_f32 v30, 0x3f3bfb3b, v34, -v30
	v_fmamk_f32 v34, v39, 0xbeae86e6, v32
	v_add_f32_e32 v38, v27, v28
	v_sub_f32_e32 v21, v21, v20
	v_sub_f32_e32 v25, v25, v23
	v_dual_add_f32 v23, v23, v31 :: v_dual_add_f32 v20, v36, v20
	v_sub_f32_e32 v40, v17, v19
	s_delay_alu instid0(VALU_DEP_4) | instskip(NEXT) | instid1(VALU_DEP_4)
	v_mul_f32_e32 v36, 0xbf5ff5aa, v21
	v_mul_f32_e32 v25, 0x3f4a47b2, v25
	v_dual_add_f32 v35, v24, v17 :: v_dual_sub_f32 v24, v19, v24
	v_fmac_f32_e32 v34, 0xbee1c552, v20
	s_delay_alu instid0(VALU_DEP_4) | instskip(SKIP_2) | instid1(VALU_DEP_3)
	v_fma_f32 v36, 0x3eae86e6, v39, -v36
	v_add_f32_e32 v17, v29, v23
	v_fma_f32 v32, 0xbf5ff5aa, v21, -v32
	v_fmac_f32_e32 v36, 0xbee1c552, v20
	s_delay_alu instid0(VALU_DEP_3) | instskip(SKIP_1) | instid1(VALU_DEP_4)
	v_fmamk_f32 v23, v23, 0xbf955555, v17
	v_dual_mul_f32 v29, 0x3d64c772, v22 :: v_dual_fmamk_f32 v22, v22, 0x3d64c772, v25
	v_dual_add_f32 v19, v35, v19 :: v_dual_fmac_f32 v32, 0xbee1c552, v20
	s_delay_alu instid0(VALU_DEP_2) | instskip(NEXT) | instid1(VALU_DEP_1)
	v_fma_f32 v29, 0x3f3bfb3b, v33, -v29
	v_add_f32_e32 v27, v29, v23
	v_add_f32_e32 v29, v30, v28
	v_mul_f32_e32 v35, 0xbf5ff5aa, v40
	v_add_f32_e32 v28, v26, v28
	s_delay_alu instid0(VALU_DEP_2) | instskip(NEXT) | instid1(VALU_DEP_1)
	v_fma_f32 v35, 0x3eae86e6, v24, -v35
	v_fmac_f32_e32 v35, 0xbee1c552, v19
	v_mul_f32_e32 v31, 0x3f08b237, v37
	v_add_f32_e32 v37, v22, v23
	s_delay_alu instid0(VALU_DEP_3) | instskip(SKIP_1) | instid1(VALU_DEP_4)
	v_sub_f32_e32 v22, v28, v35
	v_fma_f32 v25, 0xbf3bfb3b, v33, -v25
	v_dual_add_f32 v28, v35, v28 :: v_dual_fmamk_f32 v33, v24, 0xbeae86e6, v31
	v_fma_f32 v31, 0xbf5ff5aa, v40, -v31
	s_delay_alu instid0(VALU_DEP_2) | instskip(NEXT) | instid1(VALU_DEP_2)
	v_fmac_f32_e32 v33, 0xbee1c552, v19
	v_fmac_f32_e32 v31, 0xbee1c552, v19
	v_add_f32_e32 v19, v34, v37
	s_delay_alu instid0(VALU_DEP_3) | instskip(NEXT) | instid1(VALU_DEP_3)
	v_sub_f32_e32 v20, v38, v33
	v_sub_f32_e32 v26, v29, v31
	v_dual_add_f32 v30, v25, v23 :: v_dual_sub_f32 v23, v27, v32
	v_dual_add_f32 v24, v31, v29 :: v_dual_add_f32 v25, v32, v27
	v_sub_f32_e32 v29, v37, v34
	s_delay_alu instid0(VALU_DEP_3)
	v_add_f32_e32 v21, v36, v30
	v_dual_sub_f32 v27, v30, v36 :: v_dual_add_f32 v30, v33, v38
	ds_store_2addr_b64 v127, v[3:4], v[5:6] offset1:51
	ds_store_2addr_b64 v127, v[7:8], v[9:10] offset0:102 offset1:153
	ds_store_2addr_b64 v127, v[11:12], v[13:14] offset0:204 offset1:255
	;; [unrolled: 1-line block ×6, first 2 shown]
	global_wb scope:SCOPE_SE
	s_wait_dscnt 0x0
	s_barrier_signal -1
	s_barrier_wait -1
	global_inv scope:SCOPE_SE
	ds_load_2addr_b64 v[3:6], v1 offset0:50 offset1:101
	ds_load_2addr_b64 v[7:10], v1 offset0:152 offset1:203
	;; [unrolled: 1-line block ×3, first 2 shown]
	ds_load_2addr_b64 v[15:18], v127 offset1:51
	ds_load_2addr_b64 v[19:22], v0 offset0:100 offset1:151
	ds_load_2addr_b64 v[23:26], v127 offset0:102 offset1:153
	ds_load_2addr_b64 v[27:30], v127 offset0:204 offset1:255
	s_wait_dscnt 0x6
	v_mul_f32_e32 v31, v124, v6
	v_mul_f32_e32 v32, v124, v5
	s_wait_dscnt 0x5
	v_mul_f32_e32 v33, v116, v8
	s_wait_dscnt 0x2
	v_dual_mul_f32 v34, v122, v12 :: v_dual_mul_f32 v39, v112, v22
	v_fmac_f32_e32 v31, v123, v5
	v_mul_f32_e32 v5, v116, v7
	v_fma_f32 v6, v123, v6, -v32
	v_mul_f32_e32 v32, v118, v10
	v_fmac_f32_e32 v34, v121, v11
	v_mul_f32_e32 v36, v114, v14
	v_fma_f32 v8, v115, v8, -v5
	s_delay_alu instid0(VALU_DEP_4) | instskip(SKIP_2) | instid1(VALU_DEP_3)
	v_dual_mul_f32 v5, v122, v11 :: v_dual_fmac_f32 v32, v117, v9
	v_mul_f32_e32 v38, v120, v20
	v_dual_sub_f32 v6, v16, v6 :: v_dual_fmac_f32 v39, v111, v21
	v_fma_f32 v37, v121, v12, -v5
	v_mul_f32_e32 v5, v114, v13
	v_fmac_f32_e32 v36, v113, v13
	v_fmac_f32_e32 v38, v119, v19
	v_sub_f32_e32 v8, v18, v8
	s_wait_dscnt 0x1
	v_sub_f32_e32 v13, v23, v32
	v_fma_f32 v40, v113, v14, -v5
	v_fmac_f32_e32 v33, v115, v7
	v_mul_f32_e32 v7, v118, v9
	v_mul_f32_e32 v9, v112, v21
	v_fma_f32 v12, v18, 2.0, -v8
	s_delay_alu instid0(VALU_DEP_3)
	v_fma_f32 v35, v117, v10, -v7
	v_mul_f32_e32 v7, v120, v19
	v_fma_f32 v10, v16, 2.0, -v6
	s_wait_dscnt 0x0
	v_dual_sub_f32 v16, v26, v37 :: v_dual_sub_f32 v19, v27, v36
	v_sub_f32_e32 v14, v24, v35
	v_sub_f32_e32 v5, v15, v31
	v_fma_f32 v41, v119, v20, -v7
	v_dual_sub_f32 v20, v28, v40 :: v_dual_sub_f32 v7, v17, v33
	v_fma_f32 v33, v111, v22, -v9
	s_delay_alu instid0(VALU_DEP_4)
	v_fma_f32 v9, v15, 2.0, -v5
	v_sub_f32_e32 v15, v25, v34
	v_sub_f32_e32 v31, v3, v39
	v_fma_f32 v22, v26, 2.0, -v16
	v_sub_f32_e32 v32, v4, v33
	v_sub_f32_e32 v26, v30, v41
	v_fma_f32 v21, v25, 2.0, -v15
	v_sub_f32_e32 v25, v29, v38
	v_fma_f32 v11, v17, 2.0, -v7
	v_fma_f32 v17, v23, 2.0, -v13
	;; [unrolled: 1-line block ×9, first 2 shown]
	ds_store_b64 v127, v[5:6] offset:2856
	ds_store_2addr_b64 v127, v[9:10], v[11:12] offset1:51
	ds_store_2addr_b64 v1, v[7:8], v[13:14] offset0:152 offset1:203
	ds_store_2addr_b64 v127, v[17:18], v[21:22] offset0:102 offset1:153
	;; [unrolled: 1-line block ×4, first 2 shown]
	ds_store_b64 v127, v[3:4] offset:2448
	ds_store_2addr_b64 v0, v[25:26], v[31:32] offset0:100 offset1:151
	global_wb scope:SCOPE_SE
	s_wait_dscnt 0x0
	s_barrier_signal -1
	s_barrier_wait -1
	global_inv scope:SCOPE_SE
	ds_load_2addr_b64 v[3:6], v127 offset1:51
	v_mad_co_u64_u32 v[17:18], null, s6, v88, 0
	v_mad_co_u64_u32 v[21:22], null, s4, v128, 0
	s_wait_dscnt 0x0
	v_mul_f32_e32 v8, v104, v3
	v_mul_f32_e32 v7, v104, v4
	s_delay_alu instid0(VALU_DEP_2) | instskip(NEXT) | instid1(VALU_DEP_2)
	v_fma_f32 v8, v103, v4, -v8
	v_fmac_f32_e32 v7, v103, v3
	s_delay_alu instid0(VALU_DEP_2) | instskip(NEXT) | instid1(VALU_DEP_2)
	v_cvt_f64_f32_e32 v[11:12], v8
	v_cvt_f64_f32_e32 v[3:4], v7
	v_add_nc_u32_e32 v7, 0x400, v127
	ds_load_2addr_b64 v[7:10], v7 offset0:110 offset1:161
	s_wait_dscnt 0x0
	v_mul_f32_e32 v13, v102, v8
	v_mul_f32_e32 v14, v102, v7
	s_delay_alu instid0(VALU_DEP_2) | instskip(SKIP_2) | instid1(VALU_DEP_3)
	v_fmac_f32_e32 v13, v101, v7
	s_wait_alu 0xfffe
	v_mul_f64_e32 v[15:16], s[2:3], v[11:12]
	v_fma_f32 v11, v101, v8, -v14
	s_delay_alu instid0(VALU_DEP_3) | instskip(SKIP_1) | instid1(VALU_DEP_3)
	v_cvt_f64_f32_e32 v[7:8], v13
	v_mul_f64_e32 v[3:4], s[2:3], v[3:4]
	v_cvt_f64_f32_e32 v[19:20], v11
	ds_load_2addr_b64 v[11:14], v2 offset0:92 offset1:143
	v_mov_b32_e32 v2, v18
	v_mov_b32_e32 v18, v22
	v_cvt_f32_f64_e32 v25, v[15:16]
	v_mul_f64_e32 v[28:29], s[2:3], v[7:8]
	v_mul_f32_e32 v7, v100, v6
	v_mad_co_u64_u32 v[22:23], null, s7, v88, v[2:3]
	v_mad_co_u64_u32 v[23:24], null, s5, v128, v[18:19]
	v_cvt_f32_f64_e32 v24, v[3:4]
	v_mul_f32_e32 v4, v100, v5
	s_wait_dscnt 0x0
	v_dual_fmac_f32 v7, v99, v5 :: v_dual_mul_f32 v2, v98, v12
	v_mov_b32_e32 v18, v22
	v_mul_f64_e32 v[19:20], s[2:3], v[19:20]
	v_fma_f32 v34, v99, v6, -v4
	s_delay_alu instid0(VALU_DEP_4)
	v_cvt_f64_f32_e32 v[32:33], v7
	ds_load_2addr_b64 v[5:8], v0 offset0:66 offset1:117
	v_lshlrev_b64_e32 v[26:27], 3, v[17:18]
	ds_load_2addr_b64 v[15:18], v127 offset0:102 offset1:153
	v_mul_f32_e32 v3, v98, v11
	v_fmac_f32_e32 v2, v97, v11
	v_mov_b32_e32 v22, v23
	v_mul_f32_e32 v0, v83, v9
	v_cvt_f64_f32_e32 v[34:35], v34
	v_fma_f32 v3, v97, v12, -v3
	v_cvt_f64_f32_e32 v[11:12], v2
	v_lshlrev_b64_e32 v[21:22], 3, v[21:22]
	v_fma_f32 v0, v82, v10, -v0
	s_delay_alu instid0(VALU_DEP_4)
	v_cvt_f64_f32_e32 v[30:31], v3
	ds_load_2addr_b64 v[1:4], v1 offset0:84 offset1:135
	s_wait_dscnt 0x2
	v_dual_mul_f32 v48, v94, v8 :: v_dual_mul_f32 v23, v83, v10
	s_wait_dscnt 0x1
	v_dual_mul_f32 v43, v87, v5 :: v_dual_mul_f32 v38, v96, v16
	v_mul_f32_e32 v39, v96, v15
	s_delay_alu instid0(VALU_DEP_3) | instskip(SKIP_3) | instid1(VALU_DEP_4)
	v_dual_fmac_f32 v48, v93, v7 :: v_dual_fmac_f32 v23, v82, v9
	v_dual_mul_f32 v9, v90, v13 :: v_dual_mul_f32 v42, v87, v6
	v_mul_f32_e32 v46, v81, v18
	v_fmac_f32_e32 v38, v95, v15
	v_cvt_f64_f32_e32 v[36:37], v23
	v_mul_f32_e32 v23, v90, v14
	v_fma_f32 v40, v89, v14, -v9
	v_cvt_f64_f32_e32 v[9:10], v0
	s_wait_dscnt 0x0
	v_mul_f32_e32 v0, v85, v2
	v_fma_f32 v41, v95, v16, -v39
	v_fmac_f32_e32 v23, v89, v13
	v_cvt_f64_f32_e32 v[15:16], v40
	v_fmac_f32_e32 v42, v86, v5
	v_dual_fmac_f32 v46, v80, v17 :: v_dual_mul_f32 v49, v94, v7
	s_delay_alu instid0(VALU_DEP_4)
	v_cvt_f64_f32_e32 v[13:14], v23
	v_mul_f32_e32 v23, v85, v1
	v_fmac_f32_e32 v0, v84, v1
	v_cvt_f64_f32_e32 v[38:39], v38
	v_cvt_f64_f32_e32 v[40:41], v41
	;; [unrolled: 1-line block ×3, first 2 shown]
	v_fma_f32 v2, v84, v2, -v23
	v_fma_f32 v23, v86, v6, -v43
	v_cvt_f64_f32_e32 v[0:1], v0
	v_cvt_f64_f32_e32 v[42:43], v42
	v_mul_f64_e32 v[11:12], s[2:3], v[11:12]
	v_cvt_f64_f32_e32 v[5:6], v2
	v_mul_f32_e32 v2, v81, v17
	v_cvt_f64_f32_e32 v[44:45], v23
	v_mul_f32_e32 v17, v92, v4
	v_mul_f32_e32 v23, v92, v3
	v_mul_f64_e32 v[30:31], s[2:3], v[30:31]
	v_fma_f32 v2, v80, v18, -v2
	s_delay_alu instid0(VALU_DEP_4) | instskip(NEXT) | instid1(VALU_DEP_4)
	v_fmac_f32_e32 v17, v91, v3
	v_fma_f32 v4, v91, v4, -v23
	v_fma_f32 v23, v93, v8, -v49
	s_delay_alu instid0(VALU_DEP_4)
	v_cvt_f64_f32_e32 v[2:3], v2
	v_cvt_f64_f32_e32 v[48:49], v48
	;; [unrolled: 1-line block ×5, first 2 shown]
	v_add_co_u32 v4, s0, s8, v26
	s_wait_alu 0xf1ff
	v_add_co_ci_u32_e64 v23, s0, s9, v27, s0
	v_mul_f64_e32 v[26:27], s[2:3], v[32:33]
	s_delay_alu instid0(VALU_DEP_3) | instskip(SKIP_1) | instid1(VALU_DEP_3)
	v_add_co_u32 v21, s0, v4, v21
	s_wait_alu 0xf1ff
	v_add_co_ci_u32_e64 v22, s0, v23, v22, s0
	v_mul_f64_e32 v[32:33], s[2:3], v[34:35]
	v_cvt_f32_f64_e32 v23, v[28:29]
	v_mul_f64_e32 v[28:29], s[2:3], v[36:37]
	v_mul_f64_e32 v[9:10], s[2:3], v[9:10]
	;; [unrolled: 1-line block ×4, first 2 shown]
	global_store_b64 v[21:22], v[24:25], off
	v_cvt_f32_f64_e32 v24, v[19:20]
	v_mul_f64_e32 v[19:20], s[2:3], v[38:39]
	v_mul_f64_e32 v[34:35], s[2:3], v[40:41]
	v_mul_f64_e32 v[0:1], s[2:3], v[0:1]
	v_mul_f64_e32 v[36:37], s[2:3], v[42:43]
	v_mul_f64_e32 v[40:41], s[2:3], v[46:47]
	v_mul_f64_e32 v[4:5], s[2:3], v[5:6]
	s_mul_u64 s[0:1], s[4:5], 0xee
	v_mul_f64_e32 v[38:39], s[2:3], v[44:45]
	s_wait_alu 0xfffe
	s_lshl_b64 s[6:7], s[0:1], 3
	v_cvt_f32_f64_e32 v11, v[11:12]
	v_cvt_f32_f64_e32 v12, v[30:31]
	s_wait_alu 0xfffe
	v_add_co_u32 v21, s0, v21, s6
	s_wait_alu 0xf1ff
	v_add_co_ci_u32_e64 v22, s0, s7, v22, s0
	v_mul_f64_e32 v[2:3], s[2:3], v[2:3]
	v_mul_f64_e32 v[42:43], s[2:3], v[48:49]
	;; [unrolled: 1-line block ×5, first 2 shown]
	v_add_co_u32 v30, s0, v21, s6
	s_wait_alu 0xf1ff
	v_add_co_ci_u32_e64 v31, s0, s7, v22, s0
	v_cvt_f32_f64_e32 v25, v[26:27]
	s_movk_i32 s0, 0xfe57
	s_mov_b32 s1, -1
	s_wait_alu 0xfffe
	s_mul_u64 s[0:1], s[4:5], s[0:1]
	v_cvt_f32_f64_e32 v26, v[32:33]
	s_wait_alu 0xfffe
	s_lshl_b64 s[4:5], s[0:1], 3
	v_cvt_f32_f64_e32 v8, v[28:29]
	v_cvt_f32_f64_e32 v9, v[9:10]
	;; [unrolled: 1-line block ×4, first 2 shown]
	s_wait_alu 0xfffe
	v_add_co_u32 v32, s0, v30, s4
	s_wait_alu 0xf1ff
	v_add_co_ci_u32_e64 v33, s0, s5, v31, s0
	v_cvt_f32_f64_e32 v19, v[19:20]
	s_delay_alu instid0(VALU_DEP_3) | instskip(SKIP_1) | instid1(VALU_DEP_3)
	v_add_co_u32 v15, s0, v32, s6
	s_wait_alu 0xf1ff
	v_add_co_ci_u32_e64 v16, s0, s7, v33, s0
	v_cvt_f32_f64_e32 v20, v[34:35]
	v_cvt_f32_f64_e32 v27, v[0:1]
	;; [unrolled: 1-line block ×5, first 2 shown]
	v_add_co_u32 v0, s0, v15, s6
	v_cvt_f32_f64_e32 v34, v[40:41]
	s_wait_alu 0xf1ff
	v_add_co_ci_u32_e64 v1, s0, s7, v16, s0
	v_cvt_f32_f64_e32 v35, v[2:3]
	v_cvt_f32_f64_e32 v2, v[6:7]
	;; [unrolled: 1-line block ×5, first 2 shown]
	v_add_co_u32 v17, s0, v0, s4
	s_wait_alu 0xf1ff
	v_add_co_ci_u32_e64 v18, s0, s5, v1, s0
	global_store_b64 v[21:22], v[23:24], off
	v_add_co_u32 v10, s0, v17, s6
	global_store_b64 v[30:31], v[11:12], off
	s_wait_alu 0xf1ff
	v_add_co_ci_u32_e64 v11, s0, s7, v18, s0
	v_add_co_u32 v21, s0, v10, s6
	global_store_b64 v[32:33], v[25:26], off
	s_wait_alu 0xf1ff
	v_add_co_ci_u32_e64 v22, s0, s7, v11, s0
	global_store_b64 v[15:16], v[8:9], off
	v_add_co_u32 v8, s0, v21, s4
	s_wait_alu 0xf1ff
	v_add_co_ci_u32_e64 v9, s0, s5, v22, s0
	global_store_b64 v[0:1], v[13:14], off
	v_add_co_u32 v12, s0, v8, s6
	;; [unrolled: 4-line block ×3, first 2 shown]
	s_wait_alu 0xf1ff
	v_add_co_ci_u32_e64 v1, s0, s7, v13, s0
	global_store_b64 v[10:11], v[27:28], off
	global_store_b64 v[21:22], v[4:5], off
	;; [unrolled: 1-line block ×5, first 2 shown]
	s_and_b32 exec_lo, exec_lo, vcc_lo
	s_cbranch_execz .LBB0_23
; %bb.22:
	global_load_b64 v[6:7], v[78:79], off offset:1632
	v_add_nc_u32_e32 v2, 0x600, v127
	v_add_co_u32 v0, vcc_lo, v0, s4
	s_wait_alu 0xfffd
	v_add_co_ci_u32_e32 v1, vcc_lo, s5, v1, vcc_lo
	ds_load_2addr_b64 v[2:5], v2 offset0:12 offset1:250
	s_wait_loadcnt_dscnt 0x0
	v_mul_f32_e32 v8, v3, v7
	v_mul_f32_e32 v7, v2, v7
	s_delay_alu instid0(VALU_DEP_2) | instskip(NEXT) | instid1(VALU_DEP_2)
	v_fmac_f32_e32 v8, v2, v6
	v_fma_f32 v6, v6, v3, -v7
	s_delay_alu instid0(VALU_DEP_2) | instskip(NEXT) | instid1(VALU_DEP_2)
	v_cvt_f64_f32_e32 v[2:3], v8
	v_cvt_f64_f32_e32 v[6:7], v6
	s_delay_alu instid0(VALU_DEP_2) | instskip(NEXT) | instid1(VALU_DEP_2)
	v_mul_f64_e32 v[2:3], s[2:3], v[2:3]
	v_mul_f64_e32 v[6:7], s[2:3], v[6:7]
	s_delay_alu instid0(VALU_DEP_2) | instskip(NEXT) | instid1(VALU_DEP_2)
	v_cvt_f32_f64_e32 v2, v[2:3]
	v_cvt_f32_f64_e32 v3, v[6:7]
	global_store_b64 v[0:1], v[2:3], off
	global_load_b64 v[2:3], v[78:79], off offset:3536
	v_add_co_u32 v0, vcc_lo, v0, s6
	s_wait_alu 0xfffd
	v_add_co_ci_u32_e32 v1, vcc_lo, s7, v1, vcc_lo
	s_wait_loadcnt 0x0
	v_mul_f32_e32 v6, v5, v3
	v_mul_f32_e32 v3, v4, v3
	s_delay_alu instid0(VALU_DEP_2) | instskip(NEXT) | instid1(VALU_DEP_2)
	v_fmac_f32_e32 v6, v4, v2
	v_fma_f32 v4, v2, v5, -v3
	s_delay_alu instid0(VALU_DEP_2) | instskip(NEXT) | instid1(VALU_DEP_2)
	v_cvt_f64_f32_e32 v[2:3], v6
	v_cvt_f64_f32_e32 v[4:5], v4
	s_delay_alu instid0(VALU_DEP_2) | instskip(NEXT) | instid1(VALU_DEP_2)
	v_mul_f64_e32 v[2:3], s[2:3], v[2:3]
	v_mul_f64_e32 v[4:5], s[2:3], v[4:5]
	s_delay_alu instid0(VALU_DEP_2) | instskip(NEXT) | instid1(VALU_DEP_2)
	v_cvt_f32_f64_e32 v2, v[2:3]
	v_cvt_f32_f64_e32 v3, v[4:5]
	ds_load_b64 v[4:5], v127 offset:5440
	global_store_b64 v[0:1], v[2:3], off
	global_load_b64 v[2:3], v[78:79], off offset:5440
	v_add_co_u32 v0, vcc_lo, v0, s6
	s_wait_alu 0xfffd
	v_add_co_ci_u32_e32 v1, vcc_lo, s7, v1, vcc_lo
	s_wait_loadcnt_dscnt 0x0
	v_mul_f32_e32 v6, v5, v3
	v_mul_f32_e32 v3, v4, v3
	s_delay_alu instid0(VALU_DEP_2) | instskip(NEXT) | instid1(VALU_DEP_2)
	v_fmac_f32_e32 v6, v4, v2
	v_fma_f32 v4, v2, v5, -v3
	s_delay_alu instid0(VALU_DEP_2) | instskip(NEXT) | instid1(VALU_DEP_2)
	v_cvt_f64_f32_e32 v[2:3], v6
	v_cvt_f64_f32_e32 v[4:5], v4
	s_delay_alu instid0(VALU_DEP_2) | instskip(NEXT) | instid1(VALU_DEP_2)
	v_mul_f64_e32 v[2:3], s[2:3], v[2:3]
	v_mul_f64_e32 v[4:5], s[2:3], v[4:5]
	s_delay_alu instid0(VALU_DEP_2) | instskip(NEXT) | instid1(VALU_DEP_2)
	v_cvt_f32_f64_e32 v2, v[2:3]
	v_cvt_f32_f64_e32 v3, v[4:5]
	global_store_b64 v[0:1], v[2:3], off
.LBB0_23:
	s_nop 0
	s_sendmsg sendmsg(MSG_DEALLOC_VGPRS)
	s_endpgm
	.section	.rodata,"a",@progbits
	.p2align	6, 0x0
	.amdhsa_kernel bluestein_single_back_len714_dim1_sp_op_CI_CI
		.amdhsa_group_segment_fixed_size 5712
		.amdhsa_private_segment_fixed_size 0
		.amdhsa_kernarg_size 104
		.amdhsa_user_sgpr_count 2
		.amdhsa_user_sgpr_dispatch_ptr 0
		.amdhsa_user_sgpr_queue_ptr 0
		.amdhsa_user_sgpr_kernarg_segment_ptr 1
		.amdhsa_user_sgpr_dispatch_id 0
		.amdhsa_user_sgpr_private_segment_size 0
		.amdhsa_wavefront_size32 1
		.amdhsa_uses_dynamic_stack 0
		.amdhsa_enable_private_segment 0
		.amdhsa_system_sgpr_workgroup_id_x 1
		.amdhsa_system_sgpr_workgroup_id_y 0
		.amdhsa_system_sgpr_workgroup_id_z 0
		.amdhsa_system_sgpr_workgroup_info 0
		.amdhsa_system_vgpr_workitem_id 0
		.amdhsa_next_free_vgpr 230
		.amdhsa_next_free_sgpr 18
		.amdhsa_reserve_vcc 1
		.amdhsa_float_round_mode_32 0
		.amdhsa_float_round_mode_16_64 0
		.amdhsa_float_denorm_mode_32 3
		.amdhsa_float_denorm_mode_16_64 3
		.amdhsa_fp16_overflow 0
		.amdhsa_workgroup_processor_mode 1
		.amdhsa_memory_ordered 1
		.amdhsa_forward_progress 0
		.amdhsa_round_robin_scheduling 0
		.amdhsa_exception_fp_ieee_invalid_op 0
		.amdhsa_exception_fp_denorm_src 0
		.amdhsa_exception_fp_ieee_div_zero 0
		.amdhsa_exception_fp_ieee_overflow 0
		.amdhsa_exception_fp_ieee_underflow 0
		.amdhsa_exception_fp_ieee_inexact 0
		.amdhsa_exception_int_div_zero 0
	.end_amdhsa_kernel
	.text
.Lfunc_end0:
	.size	bluestein_single_back_len714_dim1_sp_op_CI_CI, .Lfunc_end0-bluestein_single_back_len714_dim1_sp_op_CI_CI
                                        ; -- End function
	.section	.AMDGPU.csdata,"",@progbits
; Kernel info:
; codeLenInByte = 21216
; NumSgprs: 20
; NumVgprs: 230
; ScratchSize: 0
; MemoryBound: 0
; FloatMode: 240
; IeeeMode: 1
; LDSByteSize: 5712 bytes/workgroup (compile time only)
; SGPRBlocks: 2
; VGPRBlocks: 28
; NumSGPRsForWavesPerEU: 20
; NumVGPRsForWavesPerEU: 230
; Occupancy: 6
; WaveLimiterHint : 1
; COMPUTE_PGM_RSRC2:SCRATCH_EN: 0
; COMPUTE_PGM_RSRC2:USER_SGPR: 2
; COMPUTE_PGM_RSRC2:TRAP_HANDLER: 0
; COMPUTE_PGM_RSRC2:TGID_X_EN: 1
; COMPUTE_PGM_RSRC2:TGID_Y_EN: 0
; COMPUTE_PGM_RSRC2:TGID_Z_EN: 0
; COMPUTE_PGM_RSRC2:TIDIG_COMP_CNT: 0
	.text
	.p2alignl 7, 3214868480
	.fill 96, 4, 3214868480
	.type	__hip_cuid_44c1c09069683a9b,@object ; @__hip_cuid_44c1c09069683a9b
	.section	.bss,"aw",@nobits
	.globl	__hip_cuid_44c1c09069683a9b
__hip_cuid_44c1c09069683a9b:
	.byte	0                               ; 0x0
	.size	__hip_cuid_44c1c09069683a9b, 1

	.ident	"AMD clang version 19.0.0git (https://github.com/RadeonOpenCompute/llvm-project roc-6.4.0 25133 c7fe45cf4b819c5991fe208aaa96edf142730f1d)"
	.section	".note.GNU-stack","",@progbits
	.addrsig
	.addrsig_sym __hip_cuid_44c1c09069683a9b
	.amdgpu_metadata
---
amdhsa.kernels:
  - .args:
      - .actual_access:  read_only
        .address_space:  global
        .offset:         0
        .size:           8
        .value_kind:     global_buffer
      - .actual_access:  read_only
        .address_space:  global
        .offset:         8
        .size:           8
        .value_kind:     global_buffer
      - .actual_access:  read_only
        .address_space:  global
        .offset:         16
        .size:           8
        .value_kind:     global_buffer
      - .actual_access:  read_only
        .address_space:  global
        .offset:         24
        .size:           8
        .value_kind:     global_buffer
      - .actual_access:  read_only
        .address_space:  global
        .offset:         32
        .size:           8
        .value_kind:     global_buffer
      - .offset:         40
        .size:           8
        .value_kind:     by_value
      - .address_space:  global
        .offset:         48
        .size:           8
        .value_kind:     global_buffer
      - .address_space:  global
        .offset:         56
        .size:           8
        .value_kind:     global_buffer
      - .address_space:  global
        .offset:         64
        .size:           8
        .value_kind:     global_buffer
      - .address_space:  global
        .offset:         72
        .size:           8
        .value_kind:     global_buffer
      - .offset:         80
        .size:           4
        .value_kind:     by_value
      - .address_space:  global
        .offset:         88
        .size:           8
        .value_kind:     global_buffer
      - .address_space:  global
        .offset:         96
        .size:           8
        .value_kind:     global_buffer
    .group_segment_fixed_size: 5712
    .kernarg_segment_align: 8
    .kernarg_segment_size: 104
    .language:       OpenCL C
    .language_version:
      - 2
      - 0
    .max_flat_workgroup_size: 51
    .name:           bluestein_single_back_len714_dim1_sp_op_CI_CI
    .private_segment_fixed_size: 0
    .sgpr_count:     20
    .sgpr_spill_count: 0
    .symbol:         bluestein_single_back_len714_dim1_sp_op_CI_CI.kd
    .uniform_work_group_size: 1
    .uses_dynamic_stack: false
    .vgpr_count:     230
    .vgpr_spill_count: 0
    .wavefront_size: 32
    .workgroup_processor_mode: 1
amdhsa.target:   amdgcn-amd-amdhsa--gfx1201
amdhsa.version:
  - 1
  - 2
...

	.end_amdgpu_metadata
